;; amdgpu-corpus repo=pytorch/pytorch kind=compiled arch=gfx1100 opt=O3
	.text
	.amdgcn_target "amdgcn-amd-amdhsa--gfx1100"
	.amdhsa_code_object_version 6
	.section	.text._ZN2at6native12_GLOBAL__N_119adaptiveaveragepoolIddEEvPKT_PS3_iiiiiilllllll,"axG",@progbits,_ZN2at6native12_GLOBAL__N_119adaptiveaveragepoolIddEEvPKT_PS3_iiiiiilllllll,comdat
	.globl	_ZN2at6native12_GLOBAL__N_119adaptiveaveragepoolIddEEvPKT_PS3_iiiiiilllllll ; -- Begin function _ZN2at6native12_GLOBAL__N_119adaptiveaveragepoolIddEEvPKT_PS3_iiiiiilllllll
	.p2align	8
	.type	_ZN2at6native12_GLOBAL__N_119adaptiveaveragepoolIddEEvPKT_PS3_iiiiiilllllll,@function
_ZN2at6native12_GLOBAL__N_119adaptiveaveragepoolIddEEvPKT_PS3_iiiiiilllllll: ; @_ZN2at6native12_GLOBAL__N_119adaptiveaveragepoolIddEEvPKT_PS3_iiiiiilllllll
; %bb.0:
	s_clause 0x2
	s_load_b64 s[2:3], s[0:1], 0x58
	s_load_b128 s[16:19], s[0:1], 0x10
	s_load_b64 s[20:21], s[0:1], 0x20
	s_waitcnt lgkmcnt(0)
	s_add_u32 s22, s14, s2
	s_addc_u32 s23, 0, s3
	s_ashr_i32 s5, s19, 31
	s_mov_b32 s4, s19
	s_delay_alu instid0(SALU_CYCLE_1) | instskip(SKIP_1) | instid1(SALU_CYCLE_1)
	s_or_b64 s[2:3], s[22:23], s[4:5]
	s_mov_b32 s2, 0
	s_cmp_lg_u64 s[2:3], 0
	s_cbranch_scc0 .LBB0_54
; %bb.1:
	s_add_u32 s8, s4, s5
	s_mov_b32 s6, s5
	s_mov_b32 s7, s5
	s_addc_u32 s9, s5, s5
	s_delay_alu instid0(SALU_CYCLE_1) | instskip(NEXT) | instid1(SALU_CYCLE_1)
	s_xor_b64 s[8:9], s[8:9], s[6:7]
	v_cvt_f32_u32_e32 v1, s8
	v_cvt_f32_u32_e32 v2, s9
	s_sub_u32 s11, 0, s8
	s_subb_u32 s12, 0, s9
	s_delay_alu instid0(VALU_DEP_1) | instskip(NEXT) | instid1(VALU_DEP_1)
	v_fmamk_f32 v1, v2, 0x4f800000, v1
	v_rcp_f32_e32 v1, v1
	s_waitcnt_depctr 0xfff
	v_mul_f32_e32 v1, 0x5f7ffffc, v1
	s_delay_alu instid0(VALU_DEP_1) | instskip(NEXT) | instid1(VALU_DEP_1)
	v_mul_f32_e32 v2, 0x2f800000, v1
	v_trunc_f32_e32 v2, v2
	s_delay_alu instid0(VALU_DEP_1) | instskip(SKIP_1) | instid1(VALU_DEP_2)
	v_fmamk_f32 v1, v2, 0xcf800000, v1
	v_cvt_u32_f32_e32 v2, v2
	v_cvt_u32_f32_e32 v1, v1
	s_delay_alu instid0(VALU_DEP_2) | instskip(NEXT) | instid1(VALU_DEP_2)
	v_readfirstlane_b32 s3, v2
	v_readfirstlane_b32 s10, v1
	s_delay_alu instid0(VALU_DEP_2) | instskip(NEXT) | instid1(VALU_DEP_1)
	s_mul_i32 s13, s11, s3
	s_mul_hi_u32 s19, s11, s10
	s_mul_i32 s14, s12, s10
	s_add_i32 s13, s19, s13
	s_mul_i32 s24, s11, s10
	s_add_i32 s13, s13, s14
	s_mul_hi_u32 s19, s10, s24
	s_mul_hi_u32 s25, s3, s24
	s_mul_i32 s14, s3, s24
	s_mul_hi_u32 s24, s10, s13
	s_mul_i32 s10, s10, s13
	s_mul_hi_u32 s26, s3, s13
	s_add_u32 s10, s19, s10
	s_addc_u32 s19, 0, s24
	s_add_u32 s10, s10, s14
	s_mul_i32 s13, s3, s13
	s_addc_u32 s10, s19, s25
	s_addc_u32 s14, s26, 0
	s_add_u32 s10, s10, s13
	s_addc_u32 s13, 0, s14
	v_add_co_u32 v1, s10, v1, s10
	s_delay_alu instid0(VALU_DEP_1) | instskip(SKIP_1) | instid1(VALU_DEP_1)
	s_cmp_lg_u32 s10, 0
	s_addc_u32 s3, s3, s13
	v_readfirstlane_b32 s10, v1
	s_mul_i32 s13, s11, s3
	s_delay_alu instid0(VALU_DEP_1)
	s_mul_hi_u32 s14, s11, s10
	s_mul_i32 s12, s12, s10
	s_add_i32 s13, s14, s13
	s_mul_i32 s11, s11, s10
	s_add_i32 s13, s13, s12
	s_mul_hi_u32 s14, s3, s11
	s_mul_i32 s19, s3, s11
	s_mul_hi_u32 s11, s10, s11
	s_mul_hi_u32 s24, s10, s13
	s_mul_i32 s10, s10, s13
	s_mul_hi_u32 s12, s3, s13
	s_add_u32 s10, s11, s10
	s_addc_u32 s11, 0, s24
	s_add_u32 s10, s10, s19
	s_mul_i32 s13, s3, s13
	s_addc_u32 s10, s11, s14
	s_addc_u32 s11, s12, 0
	s_add_u32 s10, s10, s13
	s_addc_u32 s11, 0, s11
	v_add_co_u32 v1, s10, v1, s10
	s_delay_alu instid0(VALU_DEP_1) | instskip(SKIP_2) | instid1(VALU_DEP_1)
	s_cmp_lg_u32 s10, 0
	s_addc_u32 s3, s3, s11
	s_ashr_i32 s10, s23, 31
	v_readfirstlane_b32 s14, v1
	s_add_u32 s12, s22, s10
	s_mov_b32 s11, s10
	s_addc_u32 s13, s23, s10
	s_delay_alu instid0(SALU_CYCLE_1) | instskip(NEXT) | instid1(SALU_CYCLE_1)
	s_xor_b64 s[12:13], s[12:13], s[10:11]
	s_mul_i32 s24, s12, s3
	s_mul_hi_u32 s25, s12, s14
	s_mul_hi_u32 s19, s12, s3
	s_mul_hi_u32 s27, s13, s14
	s_mul_i32 s14, s13, s14
	s_add_u32 s24, s25, s24
	s_addc_u32 s19, 0, s19
	s_mul_hi_u32 s26, s13, s3
	s_add_u32 s14, s24, s14
	s_mul_i32 s3, s13, s3
	s_addc_u32 s14, s19, s27
	s_addc_u32 s19, s26, 0
	s_add_u32 s3, s14, s3
	s_addc_u32 s14, 0, s19
	s_mul_i32 s26, s8, s3
	s_mul_hi_u32 s19, s8, s3
	s_mul_i32 s25, s8, s14
	v_sub_co_u32 v1, s12, s12, s26
	s_mul_i32 s24, s9, s3
	s_add_i32 s19, s19, s25
	s_delay_alu instid0(SALU_CYCLE_1) | instskip(NEXT) | instid1(VALU_DEP_1)
	s_add_i32 s19, s19, s24
	v_sub_co_u32 v2, s25, v1, s8
	s_sub_i32 s24, s13, s19
	s_cmp_lg_u32 s12, 0
	s_subb_u32 s24, s24, s9
	s_cmp_lg_u32 s25, 0
	v_readfirstlane_b32 s25, v2
	s_subb_u32 s24, s24, 0
	s_delay_alu instid0(SALU_CYCLE_1) | instskip(SKIP_1) | instid1(VALU_DEP_1)
	s_cmp_ge_u32 s24, s9
	s_cselect_b32 s26, -1, 0
	s_cmp_ge_u32 s25, s8
	s_cselect_b32 s25, -1, 0
	s_cmp_eq_u32 s24, s9
	s_cselect_b32 s24, s25, s26
	s_add_u32 s25, s3, 1
	s_addc_u32 s26, s14, 0
	s_add_u32 s27, s3, 2
	s_addc_u32 s28, s14, 0
	s_cmp_lg_u32 s24, 0
	s_cselect_b32 s24, s27, s25
	s_cselect_b32 s25, s28, s26
	s_cmp_lg_u32 s12, 0
	v_readfirstlane_b32 s12, v1
	s_subb_u32 s13, s13, s19
	s_delay_alu instid0(SALU_CYCLE_1) | instskip(SKIP_1) | instid1(VALU_DEP_1)
	s_cmp_ge_u32 s13, s9
	s_cselect_b32 s19, -1, 0
	s_cmp_ge_u32 s12, s8
	s_cselect_b32 s8, -1, 0
	s_cmp_eq_u32 s13, s9
	s_cselect_b32 s8, s8, s19
	s_delay_alu instid0(SALU_CYCLE_1) | instskip(SKIP_3) | instid1(SALU_CYCLE_1)
	s_cmp_lg_u32 s8, 0
	s_cselect_b32 s9, s25, s14
	s_cselect_b32 s8, s24, s3
	s_xor_b64 s[6:7], s[10:11], s[6:7]
	s_xor_b64 s[8:9], s[8:9], s[6:7]
	s_delay_alu instid0(SALU_CYCLE_1)
	s_sub_u32 s24, s8, s6
	s_subb_u32 s25, s9, s7
	v_cvt_f32_u32_e32 v3, s4
	s_and_not1_b32 vcc_lo, exec_lo, s2
	s_cbranch_vccnz .LBB0_3
.LBB0_2:
	s_delay_alu instid0(VALU_DEP_1) | instskip(SKIP_4) | instid1(VALU_DEP_1)
	v_rcp_iflag_f32_e32 v1, v3
	s_sub_i32 s3, 0, s4
	s_mov_b32 s25, 0
	s_waitcnt_depctr 0xfff
	v_mul_f32_e32 v1, 0x4f7ffffe, v1
	v_cvt_u32_f32_e32 v1, v1
	s_delay_alu instid0(VALU_DEP_1) | instskip(NEXT) | instid1(VALU_DEP_1)
	v_readfirstlane_b32 s2, v1
	s_mul_i32 s3, s3, s2
	s_delay_alu instid0(SALU_CYCLE_1) | instskip(NEXT) | instid1(SALU_CYCLE_1)
	s_mul_hi_u32 s3, s2, s3
	s_add_i32 s2, s2, s3
	s_delay_alu instid0(SALU_CYCLE_1) | instskip(NEXT) | instid1(SALU_CYCLE_1)
	s_mul_hi_u32 s2, s22, s2
	s_mul_i32 s3, s2, s4
	s_add_i32 s6, s2, 1
	s_sub_i32 s3, s22, s3
	s_delay_alu instid0(SALU_CYCLE_1)
	s_sub_i32 s7, s3, s4
	s_cmp_ge_u32 s3, s4
	s_cselect_b32 s2, s6, s2
	s_cselect_b32 s3, s7, s3
	s_add_i32 s6, s2, 1
	s_cmp_ge_u32 s3, s4
	s_cselect_b32 s24, s6, s2
.LBB0_3:
	s_delay_alu instid0(SALU_CYCLE_1) | instskip(SKIP_4) | instid1(SALU_CYCLE_1)
	s_mul_i32 s2, s24, s5
	s_mul_hi_u32 s3, s24, s4
	s_mul_i32 s6, s24, s4
	s_add_i32 s2, s3, s2
	s_mul_i32 s3, s25, s4
	s_add_i32 s2, s2, s3
	s_sub_u32 s3, s22, s6
	s_subb_u32 s2, s23, s2
	s_ashr_i32 s12, s16, 31
	s_mul_hi_u32 s7, s3, s16
	s_mul_i32 s6, s3, s12
	s_mul_i32 s2, s2, s16
	s_add_i32 s6, s7, s6
	s_delay_alu instid0(SALU_CYCLE_1) | instskip(SKIP_1) | instid1(SALU_CYCLE_1)
	s_add_i32 s7, s6, s2
	s_mul_i32 s6, s3, s16
	s_or_b64 s[8:9], s[6:7], s[4:5]
	s_mov_b32 s8, 0
	s_delay_alu instid0(SALU_CYCLE_1)
	s_cmp_lg_u64 s[8:9], 0
	s_mov_b32 s9, s16
	s_cbranch_scc0 .LBB0_55
; %bb.4:
	s_add_u32 s2, s4, s5
	s_mov_b32 s10, s5
	s_mov_b32 s11, s5
	s_addc_u32 s3, s5, s5
	s_delay_alu instid0(SALU_CYCLE_1) | instskip(NEXT) | instid1(SALU_CYCLE_1)
	s_xor_b64 s[2:3], s[2:3], s[10:11]
	v_cvt_f32_u32_e32 v1, s2
	v_cvt_f32_u32_e32 v2, s3
	s_sub_u32 s16, 0, s2
	s_subb_u32 s19, 0, s3
	s_delay_alu instid0(VALU_DEP_1) | instskip(NEXT) | instid1(VALU_DEP_1)
	v_fmamk_f32 v1, v2, 0x4f800000, v1
	v_rcp_f32_e32 v1, v1
	s_waitcnt_depctr 0xfff
	v_mul_f32_e32 v1, 0x5f7ffffc, v1
	s_delay_alu instid0(VALU_DEP_1) | instskip(NEXT) | instid1(VALU_DEP_1)
	v_mul_f32_e32 v2, 0x2f800000, v1
	v_trunc_f32_e32 v2, v2
	s_delay_alu instid0(VALU_DEP_1) | instskip(SKIP_1) | instid1(VALU_DEP_2)
	v_fmamk_f32 v1, v2, 0xcf800000, v1
	v_cvt_u32_f32_e32 v2, v2
	v_cvt_u32_f32_e32 v1, v1
	s_delay_alu instid0(VALU_DEP_2) | instskip(NEXT) | instid1(VALU_DEP_2)
	v_readfirstlane_b32 s13, v2
	v_readfirstlane_b32 s14, v1
	s_delay_alu instid0(VALU_DEP_2) | instskip(NEXT) | instid1(VALU_DEP_1)
	s_mul_i32 s26, s16, s13
	s_mul_hi_u32 s28, s16, s14
	s_mul_i32 s27, s19, s14
	s_add_i32 s26, s28, s26
	s_mul_i32 s29, s16, s14
	s_add_i32 s26, s26, s27
	s_mul_hi_u32 s28, s14, s29
	s_mul_hi_u32 s30, s13, s29
	s_mul_i32 s27, s13, s29
	s_mul_hi_u32 s29, s14, s26
	s_mul_i32 s14, s14, s26
	s_mul_hi_u32 s31, s13, s26
	s_add_u32 s14, s28, s14
	s_addc_u32 s28, 0, s29
	s_add_u32 s14, s14, s27
	s_mul_i32 s26, s13, s26
	s_addc_u32 s14, s28, s30
	s_addc_u32 s27, s31, 0
	s_add_u32 s14, s14, s26
	s_addc_u32 s26, 0, s27
	v_add_co_u32 v1, s14, v1, s14
	s_delay_alu instid0(VALU_DEP_1) | instskip(SKIP_1) | instid1(VALU_DEP_1)
	s_cmp_lg_u32 s14, 0
	s_addc_u32 s13, s13, s26
	v_readfirstlane_b32 s14, v1
	s_mul_i32 s26, s16, s13
	s_delay_alu instid0(VALU_DEP_1)
	s_mul_hi_u32 s27, s16, s14
	s_mul_i32 s19, s19, s14
	s_add_i32 s26, s27, s26
	s_mul_i32 s16, s16, s14
	s_add_i32 s26, s26, s19
	s_mul_hi_u32 s27, s13, s16
	s_mul_i32 s28, s13, s16
	s_mul_hi_u32 s16, s14, s16
	s_mul_hi_u32 s29, s14, s26
	s_mul_i32 s14, s14, s26
	s_mul_hi_u32 s19, s13, s26
	s_add_u32 s14, s16, s14
	s_addc_u32 s16, 0, s29
	s_add_u32 s14, s14, s28
	s_mul_i32 s26, s13, s26
	s_addc_u32 s14, s16, s27
	s_addc_u32 s16, s19, 0
	s_add_u32 s14, s14, s26
	s_addc_u32 s16, 0, s16
	v_add_co_u32 v1, s14, v1, s14
	s_delay_alu instid0(VALU_DEP_1) | instskip(SKIP_2) | instid1(VALU_DEP_1)
	s_cmp_lg_u32 s14, 0
	s_addc_u32 s13, s13, s16
	s_ashr_i32 s26, s7, 31
	v_readfirstlane_b32 s14, v1
	s_add_u32 s28, s6, s26
	s_mov_b32 s27, s26
	s_addc_u32 s29, s7, s26
	s_delay_alu instid0(SALU_CYCLE_1) | instskip(NEXT) | instid1(SALU_CYCLE_1)
	s_xor_b64 s[28:29], s[28:29], s[26:27]
	s_mul_i32 s19, s28, s13
	s_mul_hi_u32 s30, s28, s14
	s_mul_hi_u32 s16, s28, s13
	;; [unrolled: 1-line block ×3, first 2 shown]
	s_mul_i32 s14, s29, s14
	s_add_u32 s19, s30, s19
	s_addc_u32 s16, 0, s16
	s_mul_hi_u32 s31, s29, s13
	s_add_u32 s14, s19, s14
	s_mul_i32 s13, s29, s13
	s_addc_u32 s14, s16, s33
	s_addc_u32 s16, s31, 0
	s_add_u32 s13, s14, s13
	s_addc_u32 s14, 0, s16
	s_mul_hi_u32 s16, s2, s13
	s_mul_i32 s14, s2, s14
	s_mul_i32 s30, s2, s13
	;; [unrolled: 1-line block ×3, first 2 shown]
	s_add_i32 s14, s16, s14
	v_sub_co_u32 v1, s16, s28, s30
	s_add_i32 s14, s14, s19
	s_delay_alu instid0(SALU_CYCLE_1) | instskip(SKIP_1) | instid1(VALU_DEP_1)
	s_sub_i32 s19, s29, s14
	s_cmp_lg_u32 s16, 0
	v_sub_co_u32 v2, s28, v1, s2
	s_subb_u32 s19, s19, s3
	s_cmp_lg_u32 s28, 0
	s_subb_u32 s19, s19, 0
	s_delay_alu instid0(VALU_DEP_1)
	v_cmp_le_u32_e32 vcc_lo, s2, v2
	s_cmp_ge_u32 s19, s3
	v_cmp_le_u32_e64 s2, s2, v1
	s_cselect_b32 s28, -1, 0
	s_cmp_eq_u32 s19, s3
	v_cndmask_b32_e64 v2, 0, -1, vcc_lo
	s_cselect_b32 vcc_lo, -1, 0
	s_add_u32 s19, s13, 1
	s_add_u32 s30, s13, 2
	s_cmp_lg_u32 s16, 0
	v_mov_b32_e32 v4, s30
	v_cndmask_b32_e64 v1, 0, -1, s2
	s_subb_u32 s2, s29, s14
	v_cndmask_b32_e32 v2, s28, v2, vcc_lo
	s_cmp_ge_u32 s2, s3
	s_cselect_b32 s14, -1, 0
	s_cmp_eq_u32 s2, s3
	s_cselect_b32 vcc_lo, -1, 0
	s_xor_b64 s[2:3], s[26:27], s[10:11]
	v_cndmask_b32_e32 v1, s14, v1, vcc_lo
	v_cmp_ne_u32_e32 vcc_lo, 0, v2
	v_cndmask_b32_e32 v2, s19, v4, vcc_lo
	s_delay_alu instid0(VALU_DEP_3) | instskip(NEXT) | instid1(VALU_DEP_2)
	v_cmp_ne_u32_e32 vcc_lo, 0, v1
	v_cndmask_b32_e32 v1, s13, v2, vcc_lo
	s_delay_alu instid0(VALU_DEP_1) | instskip(NEXT) | instid1(VALU_DEP_1)
	v_xor_b32_e32 v1, s2, v1
	v_sub_co_u32 v1, vcc_lo, v1, s2
	s_and_not1_b32 vcc_lo, exec_lo, s8
	s_cbranch_vccnz .LBB0_6
.LBB0_5:
	v_rcp_iflag_f32_e32 v1, v3
	s_sub_i32 s2, 0, s4
	s_waitcnt_depctr 0xfff
	v_mul_f32_e32 v1, 0x4f7ffffe, v1
	s_delay_alu instid0(VALU_DEP_1) | instskip(NEXT) | instid1(VALU_DEP_1)
	v_cvt_u32_f32_e32 v1, v1
	v_mul_lo_u32 v2, s2, v1
	s_delay_alu instid0(VALU_DEP_1) | instskip(NEXT) | instid1(VALU_DEP_1)
	v_mul_hi_u32 v2, v1, v2
	v_add_nc_u32_e32 v1, v1, v2
	s_delay_alu instid0(VALU_DEP_1) | instskip(NEXT) | instid1(VALU_DEP_1)
	v_mul_hi_u32 v1, s6, v1
	v_mul_lo_u32 v2, v1, s4
	v_add_nc_u32_e32 v4, 1, v1
	s_delay_alu instid0(VALU_DEP_2) | instskip(NEXT) | instid1(VALU_DEP_1)
	v_sub_nc_u32_e32 v2, s6, v2
	v_subrev_nc_u32_e32 v5, s4, v2
	v_cmp_le_u32_e32 vcc_lo, s4, v2
	s_delay_alu instid0(VALU_DEP_2) | instskip(NEXT) | instid1(VALU_DEP_1)
	v_dual_cndmask_b32 v2, v2, v5 :: v_dual_cndmask_b32 v1, v1, v4
	v_cmp_le_u32_e32 vcc_lo, s4, v2
	s_delay_alu instid0(VALU_DEP_2) | instskip(NEXT) | instid1(VALU_DEP_1)
	v_add_nc_u32_e32 v4, 1, v1
	v_cndmask_b32_e32 v1, v1, v4, vcc_lo
.LBB0_6:
	s_add_u32 s2, s6, s9
	s_addc_u32 s3, s7, s12
	s_add_u32 s6, s2, -1
	s_addc_u32 s7, s3, -1
	s_delay_alu instid0(SALU_CYCLE_1) | instskip(SKIP_1) | instid1(SALU_CYCLE_1)
	s_or_b64 s[8:9], s[6:7], s[4:5]
	s_mov_b32 s8, 0
	s_cmp_lg_u64 s[8:9], 0
	s_cbranch_scc0 .LBB0_56
; %bb.7:
	s_add_u32 s2, s4, s5
	s_mov_b32 s10, s5
	s_mov_b32 s11, s5
	s_addc_u32 s3, s5, s5
	s_delay_alu instid0(SALU_CYCLE_1) | instskip(NEXT) | instid1(SALU_CYCLE_1)
	s_xor_b64 s[2:3], s[2:3], s[10:11]
	v_cvt_f32_u32_e32 v2, s2
	v_cvt_f32_u32_e32 v4, s3
	s_sub_u32 s12, 0, s2
	s_subb_u32 s13, 0, s3
	s_delay_alu instid0(VALU_DEP_1) | instskip(NEXT) | instid1(VALU_DEP_1)
	v_fmamk_f32 v2, v4, 0x4f800000, v2
	v_rcp_f32_e32 v2, v2
	s_waitcnt_depctr 0xfff
	v_mul_f32_e32 v2, 0x5f7ffffc, v2
	s_delay_alu instid0(VALU_DEP_1) | instskip(NEXT) | instid1(VALU_DEP_1)
	v_mul_f32_e32 v4, 0x2f800000, v2
	v_trunc_f32_e32 v4, v4
	s_delay_alu instid0(VALU_DEP_1) | instskip(SKIP_1) | instid1(VALU_DEP_2)
	v_fmamk_f32 v2, v4, 0xcf800000, v2
	v_cvt_u32_f32_e32 v4, v4
	v_cvt_u32_f32_e32 v2, v2
	s_delay_alu instid0(VALU_DEP_2) | instskip(NEXT) | instid1(VALU_DEP_2)
	v_readfirstlane_b32 s5, v4
	v_readfirstlane_b32 s9, v2
	s_delay_alu instid0(VALU_DEP_2) | instskip(NEXT) | instid1(VALU_DEP_1)
	s_mul_i32 s14, s12, s5
	s_mul_hi_u32 s19, s12, s9
	s_mul_i32 s16, s13, s9
	s_add_i32 s14, s19, s14
	s_mul_i32 s26, s12, s9
	s_add_i32 s14, s14, s16
	s_mul_hi_u32 s19, s9, s26
	s_mul_hi_u32 s27, s5, s26
	s_mul_i32 s16, s5, s26
	s_mul_hi_u32 s26, s9, s14
	s_mul_i32 s9, s9, s14
	s_mul_hi_u32 s28, s5, s14
	s_add_u32 s9, s19, s9
	s_addc_u32 s19, 0, s26
	s_add_u32 s9, s9, s16
	s_mul_i32 s14, s5, s14
	s_addc_u32 s9, s19, s27
	s_addc_u32 s16, s28, 0
	s_add_u32 s9, s9, s14
	s_addc_u32 s14, 0, s16
	v_add_co_u32 v2, s9, v2, s9
	s_delay_alu instid0(VALU_DEP_1) | instskip(SKIP_1) | instid1(VALU_DEP_1)
	s_cmp_lg_u32 s9, 0
	s_addc_u32 s5, s5, s14
	v_readfirstlane_b32 s9, v2
	s_mul_i32 s14, s12, s5
	s_delay_alu instid0(VALU_DEP_1)
	s_mul_hi_u32 s16, s12, s9
	s_mul_i32 s13, s13, s9
	s_add_i32 s14, s16, s14
	s_mul_i32 s12, s12, s9
	s_add_i32 s14, s14, s13
	s_mul_hi_u32 s16, s5, s12
	s_mul_i32 s19, s5, s12
	s_mul_hi_u32 s12, s9, s12
	s_mul_hi_u32 s26, s9, s14
	s_mul_i32 s9, s9, s14
	s_mul_hi_u32 s13, s5, s14
	s_add_u32 s9, s12, s9
	s_addc_u32 s12, 0, s26
	s_add_u32 s9, s9, s19
	s_mul_i32 s14, s5, s14
	s_addc_u32 s9, s12, s16
	s_addc_u32 s12, s13, 0
	s_add_u32 s9, s9, s14
	s_addc_u32 s12, 0, s12
	v_add_co_u32 v2, s9, v2, s9
	s_delay_alu instid0(VALU_DEP_1) | instskip(SKIP_2) | instid1(SALU_CYCLE_1)
	s_cmp_lg_u32 s9, 0
	s_addc_u32 s5, s5, s12
	s_ashr_i32 s12, s7, 31
	s_add_u32 s26, s6, s12
	s_addc_u32 s27, s7, s12
	v_readfirstlane_b32 s7, v2
	s_mov_b32 s13, s12
	s_delay_alu instid0(SALU_CYCLE_1) | instskip(NEXT) | instid1(SALU_CYCLE_1)
	s_xor_b64 s[26:27], s[26:27], s[12:13]
	s_mul_i32 s14, s26, s5
	s_delay_alu instid0(VALU_DEP_1)
	s_mul_hi_u32 s16, s26, s7
	s_mul_hi_u32 s9, s26, s5
	;; [unrolled: 1-line block ×3, first 2 shown]
	s_mul_i32 s7, s27, s7
	s_add_u32 s14, s16, s14
	s_addc_u32 s9, 0, s9
	s_mul_hi_u32 s19, s27, s5
	s_add_u32 s7, s14, s7
	s_mul_i32 s5, s27, s5
	s_addc_u32 s7, s9, s28
	s_addc_u32 s9, s19, 0
	s_add_u32 s5, s7, s5
	s_addc_u32 s7, 0, s9
	s_mul_hi_u32 s9, s2, s5
	s_mul_i32 s7, s2, s7
	s_mul_i32 s16, s2, s5
	;; [unrolled: 1-line block ×3, first 2 shown]
	s_add_i32 s7, s9, s7
	v_sub_co_u32 v2, s9, s26, s16
	s_add_i32 s7, s7, s14
	s_delay_alu instid0(SALU_CYCLE_1) | instskip(SKIP_1) | instid1(VALU_DEP_1)
	s_sub_i32 s14, s27, s7
	s_cmp_lg_u32 s9, 0
	v_sub_co_u32 v4, s16, v2, s2
	s_subb_u32 s14, s14, s3
	s_cmp_lg_u32 s16, 0
	s_subb_u32 s14, s14, 0
	s_delay_alu instid0(VALU_DEP_1)
	v_cmp_le_u32_e32 vcc_lo, s2, v4
	s_cmp_ge_u32 s14, s3
	v_cmp_le_u32_e64 s2, s2, v2
	s_cselect_b32 s16, -1, 0
	s_cmp_eq_u32 s14, s3
	v_cndmask_b32_e64 v4, 0, -1, vcc_lo
	s_cselect_b32 vcc_lo, -1, 0
	s_add_u32 s14, s5, 1
	s_add_u32 s19, s5, 2
	s_cmp_lg_u32 s9, 0
	v_mov_b32_e32 v5, s19
	v_cndmask_b32_e64 v2, 0, -1, s2
	s_subb_u32 s2, s27, s7
	v_cndmask_b32_e32 v4, s16, v4, vcc_lo
	s_cmp_ge_u32 s2, s3
	s_cselect_b32 s7, -1, 0
	s_cmp_eq_u32 s2, s3
	s_cselect_b32 vcc_lo, -1, 0
	s_xor_b64 s[2:3], s[12:13], s[10:11]
	v_cndmask_b32_e32 v2, s7, v2, vcc_lo
	v_cmp_ne_u32_e32 vcc_lo, 0, v4
	v_cndmask_b32_e32 v4, s14, v5, vcc_lo
	s_delay_alu instid0(VALU_DEP_3) | instskip(NEXT) | instid1(VALU_DEP_2)
	v_cmp_ne_u32_e32 vcc_lo, 0, v2
	v_cndmask_b32_e32 v2, s5, v4, vcc_lo
	s_delay_alu instid0(VALU_DEP_1) | instskip(NEXT) | instid1(VALU_DEP_1)
	v_xor_b32_e32 v2, s2, v2
	v_sub_co_u32 v4, vcc_lo, v2, s2
	s_load_b32 s36, s[0:1], 0x6c
	s_and_not1_b32 vcc_lo, exec_lo, s8
	s_cbranch_vccnz .LBB0_9
.LBB0_8:
	v_rcp_iflag_f32_e32 v2, v3
	s_sub_i32 s2, 0, s4
	s_waitcnt_depctr 0xfff
	v_mul_f32_e32 v2, 0x4f7ffffe, v2
	s_delay_alu instid0(VALU_DEP_1) | instskip(NEXT) | instid1(VALU_DEP_1)
	v_cvt_u32_f32_e32 v2, v2
	v_mul_lo_u32 v3, s2, v2
	s_delay_alu instid0(VALU_DEP_1) | instskip(NEXT) | instid1(VALU_DEP_1)
	v_mul_hi_u32 v3, v2, v3
	v_add_nc_u32_e32 v2, v2, v3
	s_delay_alu instid0(VALU_DEP_1) | instskip(NEXT) | instid1(VALU_DEP_1)
	v_mul_hi_u32 v2, s6, v2
	v_mul_lo_u32 v3, v2, s4
	v_add_nc_u32_e32 v4, 1, v2
	s_delay_alu instid0(VALU_DEP_2) | instskip(NEXT) | instid1(VALU_DEP_1)
	v_sub_nc_u32_e32 v3, s6, v3
	v_subrev_nc_u32_e32 v5, s4, v3
	v_cmp_le_u32_e32 vcc_lo, s4, v3
	s_delay_alu instid0(VALU_DEP_2) | instskip(NEXT) | instid1(VALU_DEP_1)
	v_dual_cndmask_b32 v3, v3, v5 :: v_dual_cndmask_b32 v2, v2, v4
	v_cmp_le_u32_e32 vcc_lo, s4, v3
	s_delay_alu instid0(VALU_DEP_2) | instskip(NEXT) | instid1(VALU_DEP_1)
	v_add_nc_u32_e32 v4, 1, v2
	v_cndmask_b32_e32 v4, v2, v4, vcc_lo
.LBB0_9:
	v_bfe_u32 v5, v0, 10, 10
	s_waitcnt lgkmcnt(0)
	s_lshr_b32 s33, s36, 16
	s_mov_b32 s2, exec_lo
	s_delay_alu instid0(VALU_DEP_1) | instskip(NEXT) | instid1(VALU_DEP_1)
	v_mad_u64_u32 v[2:3], null, s15, s33, v[5:6]
	v_cmpx_gt_i32_e64 s20, v2
	s_cbranch_execz .LBB0_53
; %bb.10:
	s_clause 0x1
	s_load_b256 s[4:11], s[0:1], 0x28
	s_load_b128 s[12:15], s[0:1], 0x48
	s_bfe_i64 s[26:27], s[24:25], 0x200000
	s_waitcnt lgkmcnt(0)
	s_or_b64 s[2:3], s[26:27], s[4:5]
	s_mov_b32 s2, 0
	s_delay_alu instid0(SALU_CYCLE_1)
	s_cmp_lg_u64 s[2:3], 0
	s_cbranch_scc0 .LBB0_57
; %bb.11:
	s_ashr_i32 s28, s5, 31
	s_delay_alu instid0(SALU_CYCLE_1) | instskip(SKIP_2) | instid1(SALU_CYCLE_1)
	s_add_u32 s30, s4, s28
	s_mov_b32 s29, s28
	s_addc_u32 s31, s5, s28
	s_xor_b64 s[30:31], s[30:31], s[28:29]
	s_delay_alu instid0(SALU_CYCLE_1) | instskip(SKIP_3) | instid1(VALU_DEP_1)
	v_cvt_f32_u32_e32 v3, s30
	v_cvt_f32_u32_e32 v5, s31
	s_sub_u32 s19, 0, s30
	s_subb_u32 s25, 0, s31
	v_fmamk_f32 v3, v5, 0x4f800000, v3
	s_delay_alu instid0(VALU_DEP_1) | instskip(SKIP_2) | instid1(VALU_DEP_1)
	v_rcp_f32_e32 v3, v3
	s_waitcnt_depctr 0xfff
	v_mul_f32_e32 v3, 0x5f7ffffc, v3
	v_mul_f32_e32 v5, 0x2f800000, v3
	s_delay_alu instid0(VALU_DEP_1) | instskip(NEXT) | instid1(VALU_DEP_1)
	v_trunc_f32_e32 v5, v5
	v_fmamk_f32 v3, v5, 0xcf800000, v3
	v_cvt_u32_f32_e32 v5, v5
	s_delay_alu instid0(VALU_DEP_2) | instskip(NEXT) | instid1(VALU_DEP_2)
	v_cvt_u32_f32_e32 v3, v3
	v_readfirstlane_b32 s3, v5
	s_delay_alu instid0(VALU_DEP_2) | instskip(NEXT) | instid1(VALU_DEP_2)
	v_readfirstlane_b32 s16, v3
	s_mul_i32 s34, s19, s3
	s_delay_alu instid0(VALU_DEP_1)
	s_mul_hi_u32 s37, s19, s16
	s_mul_i32 s35, s25, s16
	s_add_i32 s34, s37, s34
	s_mul_i32 s38, s19, s16
	s_add_i32 s34, s34, s35
	s_mul_hi_u32 s37, s16, s38
	s_mul_hi_u32 s39, s3, s38
	s_mul_i32 s35, s3, s38
	s_mul_hi_u32 s38, s16, s34
	s_mul_i32 s16, s16, s34
	s_mul_hi_u32 s40, s3, s34
	s_add_u32 s16, s37, s16
	s_addc_u32 s37, 0, s38
	s_add_u32 s16, s16, s35
	s_mul_i32 s34, s3, s34
	s_addc_u32 s16, s37, s39
	s_addc_u32 s35, s40, 0
	s_add_u32 s16, s16, s34
	s_addc_u32 s34, 0, s35
	v_add_co_u32 v3, s16, v3, s16
	s_delay_alu instid0(VALU_DEP_1) | instskip(SKIP_1) | instid1(VALU_DEP_1)
	s_cmp_lg_u32 s16, 0
	s_addc_u32 s3, s3, s34
	v_readfirstlane_b32 s16, v3
	s_mul_i32 s35, s19, s3
	s_mov_b32 s34, s27
	s_delay_alu instid0(VALU_DEP_1)
	s_mul_hi_u32 s37, s19, s16
	s_mul_i32 s25, s25, s16
	s_add_i32 s35, s37, s35
	s_mul_i32 s19, s19, s16
	s_add_i32 s35, s35, s25
	s_mul_hi_u32 s37, s3, s19
	s_mul_i32 s38, s3, s19
	s_mul_hi_u32 s19, s16, s19
	s_mul_hi_u32 s39, s16, s35
	s_mul_i32 s16, s16, s35
	s_mul_hi_u32 s25, s3, s35
	s_add_u32 s16, s19, s16
	s_addc_u32 s19, 0, s39
	s_add_u32 s16, s16, s38
	s_mul_i32 s35, s3, s35
	s_addc_u32 s16, s19, s37
	s_addc_u32 s19, s25, 0
	s_add_u32 s16, s16, s35
	s_addc_u32 s19, 0, s19
	v_add_co_u32 v3, s16, v3, s16
	s_delay_alu instid0(VALU_DEP_1)
	s_cmp_lg_u32 s16, 0
	s_mov_b32 s35, s27
	s_addc_u32 s3, s3, s19
	s_add_u32 s38, s26, s27
	v_readfirstlane_b32 s16, v3
	s_addc_u32 s39, s27, s27
	s_delay_alu instid0(SALU_CYCLE_1) | instskip(NEXT) | instid1(SALU_CYCLE_1)
	s_xor_b64 s[38:39], s[38:39], s[34:35]
	s_mul_i32 s25, s38, s3
	s_delay_alu instid0(VALU_DEP_1)
	s_mul_hi_u32 s37, s38, s16
	s_mul_hi_u32 s19, s38, s3
	;; [unrolled: 1-line block ×3, first 2 shown]
	s_mul_i32 s16, s39, s16
	s_add_u32 s25, s37, s25
	s_addc_u32 s19, 0, s19
	s_mul_hi_u32 s40, s39, s3
	s_add_u32 s16, s25, s16
	s_mul_i32 s3, s39, s3
	s_addc_u32 s16, s19, s41
	s_addc_u32 s19, s40, 0
	s_add_u32 s3, s16, s3
	s_addc_u32 s16, 0, s19
	s_mul_hi_u32 s19, s30, s3
	s_mul_i32 s37, s30, s16
	s_mul_i32 s40, s30, s3
	s_add_i32 s19, s19, s37
	v_sub_co_u32 v3, s37, s38, s40
	s_mul_i32 s25, s31, s3
	s_delay_alu instid0(SALU_CYCLE_1) | instskip(NEXT) | instid1(VALU_DEP_1)
	s_add_i32 s19, s19, s25
	v_sub_co_u32 v5, s38, v3, s30
	s_sub_i32 s25, s39, s19
	s_cmp_lg_u32 s37, 0
	s_subb_u32 s25, s25, s31
	s_cmp_lg_u32 s38, 0
	v_readfirstlane_b32 s38, v5
	s_subb_u32 s25, s25, 0
	s_delay_alu instid0(SALU_CYCLE_1) | instskip(SKIP_1) | instid1(VALU_DEP_1)
	s_cmp_ge_u32 s25, s31
	s_cselect_b32 s40, -1, 0
	s_cmp_ge_u32 s38, s30
	s_cselect_b32 s38, -1, 0
	s_cmp_eq_u32 s25, s31
	s_cselect_b32 s25, s38, s40
	s_add_u32 s38, s3, 1
	s_addc_u32 s40, s16, 0
	s_add_u32 s41, s3, 2
	s_addc_u32 s42, s16, 0
	s_cmp_lg_u32 s25, 0
	s_cselect_b32 s25, s41, s38
	s_cselect_b32 s38, s42, s40
	s_cmp_lg_u32 s37, 0
	v_readfirstlane_b32 s37, v3
	s_subb_u32 s19, s39, s19
	s_delay_alu instid0(SALU_CYCLE_1) | instskip(SKIP_1) | instid1(VALU_DEP_1)
	s_cmp_ge_u32 s19, s31
	s_cselect_b32 s39, -1, 0
	s_cmp_ge_u32 s37, s30
	s_cselect_b32 s30, -1, 0
	s_cmp_eq_u32 s19, s31
	s_cselect_b32 s19, s30, s39
	s_delay_alu instid0(SALU_CYCLE_1) | instskip(SKIP_3) | instid1(SALU_CYCLE_1)
	s_cmp_lg_u32 s19, 0
	s_cselect_b32 s31, s38, s16
	s_cselect_b32 s30, s25, s3
	s_xor_b64 s[28:29], s[34:35], s[28:29]
	s_xor_b64 s[30:31], s[30:31], s[28:29]
	s_delay_alu instid0(SALU_CYCLE_1)
	s_sub_u32 s28, s30, s28
	s_subb_u32 s29, s31, s29
	s_load_b32 s31, s[0:1], 0x64
	s_and_not1_b32 vcc_lo, exec_lo, s2
	s_cbranch_vccnz .LBB0_13
.LBB0_12:
	v_cvt_f32_u32_e32 v3, s4
	s_sub_i32 s3, 0, s4
	s_mov_b32 s29, 0
	s_delay_alu instid0(VALU_DEP_1) | instskip(SKIP_2) | instid1(VALU_DEP_1)
	v_rcp_iflag_f32_e32 v3, v3
	s_waitcnt_depctr 0xfff
	v_mul_f32_e32 v3, 0x4f7ffffe, v3
	v_cvt_u32_f32_e32 v3, v3
	s_delay_alu instid0(VALU_DEP_1) | instskip(NEXT) | instid1(VALU_DEP_1)
	v_readfirstlane_b32 s2, v3
	s_mul_i32 s3, s3, s2
	s_delay_alu instid0(SALU_CYCLE_1) | instskip(NEXT) | instid1(SALU_CYCLE_1)
	s_mul_hi_u32 s3, s2, s3
	s_add_i32 s2, s2, s3
	s_delay_alu instid0(SALU_CYCLE_1) | instskip(NEXT) | instid1(SALU_CYCLE_1)
	s_mul_hi_u32 s2, s24, s2
	s_mul_i32 s3, s2, s4
	s_add_i32 s16, s2, 1
	s_sub_i32 s3, s24, s3
	s_delay_alu instid0(SALU_CYCLE_1)
	s_sub_i32 s19, s3, s4
	s_cmp_ge_u32 s3, s4
	s_cselect_b32 s2, s16, s2
	s_cselect_b32 s3, s19, s3
	s_add_i32 s16, s2, 1
	s_cmp_ge_u32 s3, s4
	s_cselect_b32 s28, s16, s2
.LBB0_13:
	s_load_b128 s[0:3], s[0:1], 0x0
	s_mul_i32 s25, s21, s20
	s_mul_hi_i32 s24, s21, s20
	s_mul_i32 s30, s28, s5
	s_mul_i32 s5, s25, s23
	s_mul_hi_u32 s23, s25, s22
	s_mul_i32 s24, s24, s22
	s_add_i32 s5, s23, s5
	s_mul_i32 s22, s25, s22
	s_add_i32 s23, s5, s24
	s_mul_hi_u32 s34, s28, s4
	s_mul_i32 s35, s29, s4
	s_mul_i32 s25, s28, s4
	s_lshl_b64 s[4:5], s[22:23], 3
	s_ashr_i32 s16, s20, 31
	s_ashr_i32 s19, s21, 31
	s_mul_i32 s7, s28, s7
	v_sub_nc_u32_e32 v8, v4, v1
	v_and_b32_e32 v0, 0x3ff, v0
	s_waitcnt lgkmcnt(0)
	s_mul_i32 s31, s31, s33
	s_add_u32 s22, s2, s4
	s_addc_u32 s23, s3, s5
	s_add_i32 s2, s34, s30
	s_and_b32 s24, s36, 0xffff
	s_add_i32 s2, s2, s35
	s_sub_u32 s4, s26, s25
	s_subb_u32 s5, s27, s2
	s_mul_hi_u32 s27, s28, s6
	s_bfe_i64 s[2:3], s[28:29], 0x200000
	s_add_i32 s2, s27, s7
	s_mul_i32 s3, s3, s6
	s_mul_i32 s7, s4, s9
	s_mul_hi_u32 s9, s4, s8
	s_add_i32 s3, s2, s3
	s_mul_i32 s2, s28, s6
	s_add_i32 s7, s9, s7
	s_mul_i32 s5, s5, s8
	s_lshl_b64 s[2:3], s[2:3], 3
	s_ashr_i32 s25, s17, 31
	s_ashr_i32 s26, s18, 31
	s_add_i32 s5, s7, s5
	s_mul_i32 s4, s4, s8
	s_add_u32 s2, s0, s2
	s_addc_u32 s3, s1, s3
	s_lshl_b64 s[0:1], s[4:5], 3
	s_mov_b32 s8, s20
	s_add_u32 s9, s2, s0
	s_addc_u32 s27, s3, s1
	s_ashr_i32 s28, s20, 31
	v_cvt_f32_u32_e32 v5, s8
	s_add_i32 s0, s20, s28
	v_mov_b32_e32 v4, 0
	s_xor_b32 s29, s0, s28
	s_sub_i32 s1, 0, s20
	v_cvt_f32_u32_e32 v3, s29
	v_rcp_iflag_f32_e32 v5, v5
	s_sub_i32 s0, 0, s29
	s_mov_b32 s30, s21
	v_add_nc_u32_e32 v12, 1, v8
	v_rcp_iflag_f32_e32 v3, v3
	s_mov_b32 s33, 0
	s_delay_alu instid0(VALU_DEP_1) | instskip(SKIP_3) | instid1(VALU_DEP_2)
	v_max_i32_e32 v13, 1, v12
	s_waitcnt_depctr 0xfff
	v_mul_f32_e32 v5, 0x4f7ffffe, v5
	v_mul_f32_e32 v3, 0x4f7ffffe, v3
	v_cvt_u32_f32_e32 v5, v5
	s_delay_alu instid0(VALU_DEP_2) | instskip(NEXT) | instid1(VALU_DEP_2)
	v_cvt_u32_f32_e32 v3, v3
	v_mul_lo_u32 v7, s1, v5
	v_cmp_gt_u32_e64 s1, 0x7fffffff, v8
	s_delay_alu instid0(VALU_DEP_3) | instskip(SKIP_1) | instid1(VALU_DEP_4)
	v_mul_lo_u32 v6, s0, v3
	v_cmp_gt_i32_e64 s0, s21, v0
	v_mul_hi_u32 v7, v5, v7
	s_delay_alu instid0(VALU_DEP_3) | instskip(NEXT) | instid1(VALU_DEP_2)
	v_mul_hi_u32 v6, v3, v6
	v_add_nc_u32_e32 v15, v5, v7
	s_delay_alu instid0(VALU_DEP_2)
	v_add_nc_u32_e32 v14, v3, v6
	s_branch .LBB0_15
.LBB0_14:                               ;   in Loop: Header=BB0_15 Depth=1
	s_or_b32 exec_lo, exec_lo, s34
	v_add_nc_u32_e32 v2, s31, v2
	s_delay_alu instid0(VALU_DEP_1) | instskip(SKIP_1) | instid1(SALU_CYCLE_1)
	v_cmp_le_i32_e32 vcc_lo, s20, v2
	s_or_b32 s33, vcc_lo, s33
	s_and_not1_b32 exec_lo, exec_lo, s33
	s_cbranch_execz .LBB0_53
.LBB0_15:                               ; =>This Loop Header: Depth=1
                                        ;     Child Loop BB0_30 Depth 2
                                        ;       Child Loop BB0_46 Depth 3
                                        ;         Child Loop BB0_49 Depth 4
                                        ;           Child Loop BB0_51 Depth 5
	v_ashrrev_i32_e32 v10, 31, v2
	v_mov_b32_e32 v5, v4
	s_mov_b32 s2, exec_lo
                                        ; implicit-def: $vgpr7_vgpr8
	s_delay_alu instid0(VALU_DEP_2) | instskip(NEXT) | instid1(VALU_DEP_1)
	v_or_b32_e32 v6, s16, v10
	v_cmpx_ne_u64_e32 0, v[5:6]
	s_xor_b32 s2, exec_lo, s2
	s_cbranch_execz .LBB0_17
; %bb.16:                               ;   in Loop: Header=BB0_15 Depth=1
	v_ashrrev_i32_e32 v3, 31, v2
	s_delay_alu instid0(VALU_DEP_1) | instskip(NEXT) | instid1(VALU_DEP_1)
	v_add_nc_u32_e32 v5, v2, v3
	v_xor_b32_e32 v5, v5, v3
	v_xor_b32_e32 v3, s28, v3
	s_delay_alu instid0(VALU_DEP_2) | instskip(NEXT) | instid1(VALU_DEP_1)
	v_mul_hi_u32 v6, v5, v14
	v_mul_lo_u32 v7, v6, s29
	s_delay_alu instid0(VALU_DEP_1) | instskip(SKIP_1) | instid1(VALU_DEP_2)
	v_sub_nc_u32_e32 v5, v5, v7
	v_add_nc_u32_e32 v7, 1, v6
	v_subrev_nc_u32_e32 v8, s29, v5
	v_cmp_le_u32_e32 vcc_lo, s29, v5
	s_delay_alu instid0(VALU_DEP_2) | instskip(NEXT) | instid1(VALU_DEP_1)
	v_dual_cndmask_b32 v5, v5, v8 :: v_dual_cndmask_b32 v6, v6, v7
	v_cmp_le_u32_e32 vcc_lo, s29, v5
	s_delay_alu instid0(VALU_DEP_2) | instskip(NEXT) | instid1(VALU_DEP_1)
	v_add_nc_u32_e32 v7, 1, v6
	v_cndmask_b32_e32 v5, v6, v7, vcc_lo
	s_delay_alu instid0(VALU_DEP_1) | instskip(NEXT) | instid1(VALU_DEP_1)
	v_xor_b32_e32 v5, v5, v3
	v_sub_nc_u32_e32 v7, v5, v3
	s_delay_alu instid0(VALU_DEP_1)
	v_ashrrev_i32_e32 v8, 31, v7
.LBB0_17:                               ;   in Loop: Header=BB0_15 Depth=1
	s_and_not1_saveexec_b32 s2, s2
	s_cbranch_execz .LBB0_19
; %bb.18:                               ;   in Loop: Header=BB0_15 Depth=1
	v_mul_hi_u32 v3, v2, v15
	s_delay_alu instid0(VALU_DEP_1) | instskip(SKIP_1) | instid1(VALU_DEP_2)
	v_mul_lo_u32 v5, v3, s8
	v_add_nc_u32_e32 v6, 1, v3
	v_sub_nc_u32_e32 v5, v2, v5
	s_delay_alu instid0(VALU_DEP_1) | instskip(SKIP_1) | instid1(VALU_DEP_2)
	v_subrev_nc_u32_e32 v7, s8, v5
	v_cmp_le_u32_e32 vcc_lo, s8, v5
	v_cndmask_b32_e32 v5, v5, v7, vcc_lo
	v_cndmask_b32_e32 v3, v3, v6, vcc_lo
	s_delay_alu instid0(VALU_DEP_2) | instskip(NEXT) | instid1(VALU_DEP_2)
	v_cmp_le_u32_e32 vcc_lo, s8, v5
	v_add_nc_u32_e32 v6, 1, v3
	s_delay_alu instid0(VALU_DEP_1) | instskip(NEXT) | instid1(VALU_DEP_1)
	v_cndmask_b32_e32 v3, v3, v6, vcc_lo
	v_dual_mov_b32 v8, v4 :: v_dual_mov_b32 v7, v3
.LBB0_19:                               ;   in Loop: Header=BB0_15 Depth=1
	s_or_b32 exec_lo, exec_lo, s2
	s_delay_alu instid0(VALU_DEP_1) | instskip(NEXT) | instid1(VALU_DEP_2)
	v_mul_lo_u32 v3, v8, s8
	v_mul_lo_u32 v8, v7, s16
	v_mad_u64_u32 v[5:6], null, v7, s8, 0
	s_delay_alu instid0(VALU_DEP_1) | instskip(NEXT) | instid1(VALU_DEP_2)
	v_add3_u32 v3, v6, v8, v3
	v_sub_co_u32 v8, vcc_lo, v2, v5
	s_delay_alu instid0(VALU_DEP_2) | instskip(NEXT) | instid1(VALU_DEP_2)
	v_sub_co_ci_u32_e32 v3, vcc_lo, v10, v3, vcc_lo
	v_mul_lo_u32 v9, v8, s25
	v_mad_u64_u32 v[5:6], null, v8, s17, 0
	s_delay_alu instid0(VALU_DEP_3) | instskip(SKIP_1) | instid1(VALU_DEP_2)
	v_mul_lo_u32 v3, v3, s17
	v_mov_b32_e32 v8, v4
	v_add3_u32 v6, v6, v9, v3
	s_delay_alu instid0(VALU_DEP_1) | instskip(NEXT) | instid1(VALU_DEP_1)
	v_or_b32_e32 v9, s16, v6
	v_cmp_ne_u64_e32 vcc_lo, 0, v[8:9]
                                        ; implicit-def: $vgpr8_vgpr9
	s_and_saveexec_b32 s2, vcc_lo
	s_delay_alu instid0(SALU_CYCLE_1)
	s_xor_b32 s3, exec_lo, s2
	s_cbranch_execz .LBB0_21
; %bb.20:                               ;   in Loop: Header=BB0_15 Depth=1
	s_add_u32 s6, s8, s16
	s_mov_b32 s4, s16
	s_mov_b32 s5, s16
	s_addc_u32 s7, s16, s16
	s_delay_alu instid0(SALU_CYCLE_1) | instskip(NEXT) | instid1(SALU_CYCLE_1)
	s_xor_b64 s[6:7], s[6:7], s[4:5]
	v_cvt_f32_u32_e32 v3, s6
	v_cvt_f32_u32_e32 v8, s7
	s_sub_u32 s2, 0, s6
	s_subb_u32 s5, 0, s7
	s_delay_alu instid0(VALU_DEP_1) | instskip(NEXT) | instid1(VALU_DEP_1)
	v_fmac_f32_e32 v3, 0x4f800000, v8
	v_rcp_f32_e32 v3, v3
	s_waitcnt_depctr 0xfff
	v_mul_f32_e32 v3, 0x5f7ffffc, v3
	s_delay_alu instid0(VALU_DEP_1) | instskip(NEXT) | instid1(VALU_DEP_1)
	v_mul_f32_e32 v8, 0x2f800000, v3
	v_trunc_f32_e32 v8, v8
	s_delay_alu instid0(VALU_DEP_1) | instskip(SKIP_1) | instid1(VALU_DEP_2)
	v_fmac_f32_e32 v3, 0xcf800000, v8
	v_cvt_u32_f32_e32 v8, v8
	v_cvt_u32_f32_e32 v3, v3
	s_delay_alu instid0(VALU_DEP_2) | instskip(NEXT) | instid1(VALU_DEP_2)
	v_mul_lo_u32 v9, s2, v8
	v_mul_hi_u32 v11, s2, v3
	v_mul_lo_u32 v16, s5, v3
	s_delay_alu instid0(VALU_DEP_2) | instskip(SKIP_1) | instid1(VALU_DEP_2)
	v_add_nc_u32_e32 v9, v11, v9
	v_mul_lo_u32 v11, s2, v3
	v_add_nc_u32_e32 v9, v9, v16
	s_delay_alu instid0(VALU_DEP_2) | instskip(NEXT) | instid1(VALU_DEP_2)
	v_mul_hi_u32 v16, v3, v11
	v_mul_lo_u32 v17, v3, v9
	v_mul_hi_u32 v18, v3, v9
	v_mul_hi_u32 v19, v8, v11
	v_mul_lo_u32 v11, v8, v11
	v_mul_hi_u32 v20, v8, v9
	v_mul_lo_u32 v9, v8, v9
	v_add_co_u32 v16, vcc_lo, v16, v17
	v_add_co_ci_u32_e32 v17, vcc_lo, 0, v18, vcc_lo
	s_delay_alu instid0(VALU_DEP_2) | instskip(NEXT) | instid1(VALU_DEP_2)
	v_add_co_u32 v11, vcc_lo, v16, v11
	v_add_co_ci_u32_e32 v11, vcc_lo, v17, v19, vcc_lo
	v_add_co_ci_u32_e32 v16, vcc_lo, 0, v20, vcc_lo
	v_ashrrev_i32_e32 v19, 31, v6
	s_delay_alu instid0(VALU_DEP_3) | instskip(NEXT) | instid1(VALU_DEP_3)
	v_add_co_u32 v9, vcc_lo, v11, v9
	v_add_co_ci_u32_e32 v11, vcc_lo, 0, v16, vcc_lo
	s_delay_alu instid0(VALU_DEP_2) | instskip(NEXT) | instid1(VALU_DEP_2)
	v_add_co_u32 v3, vcc_lo, v3, v9
	v_add_co_ci_u32_e32 v8, vcc_lo, v8, v11, vcc_lo
	s_delay_alu instid0(VALU_DEP_2) | instskip(SKIP_1) | instid1(VALU_DEP_3)
	v_mul_hi_u32 v9, s2, v3
	v_mul_lo_u32 v16, s5, v3
	v_mul_lo_u32 v11, s2, v8
	s_delay_alu instid0(VALU_DEP_1) | instskip(SKIP_1) | instid1(VALU_DEP_2)
	v_add_nc_u32_e32 v9, v9, v11
	v_mul_lo_u32 v11, s2, v3
	v_add_nc_u32_e32 v9, v9, v16
	s_delay_alu instid0(VALU_DEP_2) | instskip(NEXT) | instid1(VALU_DEP_2)
	v_mul_hi_u32 v16, v3, v11
	v_mul_lo_u32 v17, v3, v9
	v_mul_hi_u32 v18, v3, v9
	v_mul_hi_u32 v20, v8, v11
	v_mul_lo_u32 v11, v8, v11
	v_mul_hi_u32 v21, v8, v9
	v_mul_lo_u32 v9, v8, v9
	v_add_co_u32 v16, vcc_lo, v16, v17
	v_add_co_ci_u32_e32 v17, vcc_lo, 0, v18, vcc_lo
	s_delay_alu instid0(VALU_DEP_2) | instskip(NEXT) | instid1(VALU_DEP_2)
	v_add_co_u32 v11, vcc_lo, v16, v11
	v_add_co_ci_u32_e32 v11, vcc_lo, v17, v20, vcc_lo
	v_add_co_ci_u32_e32 v16, vcc_lo, 0, v21, vcc_lo
	v_add_co_u32 v5, vcc_lo, v5, v19
	v_add_co_ci_u32_e32 v6, vcc_lo, v6, v19, vcc_lo
	s_delay_alu instid0(VALU_DEP_4) | instskip(NEXT) | instid1(VALU_DEP_4)
	v_add_co_u32 v9, vcc_lo, v11, v9
	v_add_co_ci_u32_e32 v11, vcc_lo, 0, v16, vcc_lo
	s_delay_alu instid0(VALU_DEP_4) | instskip(NEXT) | instid1(VALU_DEP_3)
	v_xor_b32_e32 v18, v5, v19
	v_add_co_u32 v3, vcc_lo, v3, v9
	s_delay_alu instid0(VALU_DEP_3) | instskip(SKIP_1) | instid1(VALU_DEP_3)
	v_add_co_ci_u32_e32 v11, vcc_lo, v8, v11, vcc_lo
	v_xor_b32_e32 v20, v6, v19
	v_mul_hi_u32 v21, v18, v3
	s_delay_alu instid0(VALU_DEP_3) | instskip(NEXT) | instid1(VALU_DEP_3)
	v_mad_u64_u32 v[5:6], null, v18, v11, 0
	v_mad_u64_u32 v[8:9], null, v20, v3, 0
	;; [unrolled: 1-line block ×3, first 2 shown]
	s_delay_alu instid0(VALU_DEP_3) | instskip(NEXT) | instid1(VALU_DEP_4)
	v_add_co_u32 v3, vcc_lo, v21, v5
	v_add_co_ci_u32_e32 v5, vcc_lo, 0, v6, vcc_lo
	s_delay_alu instid0(VALU_DEP_2) | instskip(NEXT) | instid1(VALU_DEP_2)
	v_add_co_u32 v3, vcc_lo, v3, v8
	v_add_co_ci_u32_e32 v3, vcc_lo, v5, v9, vcc_lo
	v_add_co_ci_u32_e32 v5, vcc_lo, 0, v17, vcc_lo
	s_delay_alu instid0(VALU_DEP_2) | instskip(NEXT) | instid1(VALU_DEP_2)
	v_add_co_u32 v3, vcc_lo, v3, v16
	v_add_co_ci_u32_e32 v8, vcc_lo, 0, v5, vcc_lo
	s_delay_alu instid0(VALU_DEP_2) | instskip(SKIP_1) | instid1(VALU_DEP_3)
	v_mul_lo_u32 v9, s7, v3
	v_mad_u64_u32 v[5:6], null, s6, v3, 0
	v_mul_lo_u32 v8, s6, v8
	s_delay_alu instid0(VALU_DEP_2) | instskip(NEXT) | instid1(VALU_DEP_2)
	v_sub_co_u32 v5, vcc_lo, v18, v5
	v_add3_u32 v6, v6, v8, v9
	v_add_co_u32 v9, s2, v3, 2
	s_delay_alu instid0(VALU_DEP_2) | instskip(NEXT) | instid1(VALU_DEP_1)
	v_sub_nc_u32_e32 v8, v20, v6
	v_subrev_co_ci_u32_e64 v8, s2, s7, v8, vcc_lo
	v_sub_co_u32 v11, s2, v5, s6
	v_sub_co_ci_u32_e32 v6, vcc_lo, v20, v6, vcc_lo
	s_delay_alu instid0(VALU_DEP_3) | instskip(NEXT) | instid1(VALU_DEP_3)
	v_subrev_co_ci_u32_e64 v8, s2, 0, v8, s2
	v_cmp_le_u32_e32 vcc_lo, s6, v11
	v_cndmask_b32_e64 v11, 0, -1, vcc_lo
	s_delay_alu instid0(VALU_DEP_3)
	v_cmp_le_u32_e32 vcc_lo, s7, v8
	v_cndmask_b32_e64 v16, 0, -1, vcc_lo
	v_cmp_le_u32_e32 vcc_lo, s6, v5
	v_cndmask_b32_e64 v5, 0, -1, vcc_lo
	;; [unrolled: 2-line block ×3, first 2 shown]
	v_cmp_eq_u32_e32 vcc_lo, s7, v8
	v_cndmask_b32_e32 v8, v16, v11, vcc_lo
	v_add_co_u32 v11, vcc_lo, v3, 1
	v_cmp_eq_u32_e32 vcc_lo, s7, v6
	v_cndmask_b32_e32 v5, v17, v5, vcc_lo
	s_delay_alu instid0(VALU_DEP_4) | instskip(NEXT) | instid1(VALU_DEP_4)
	v_cmp_ne_u32_e32 vcc_lo, 0, v8
	v_cndmask_b32_e32 v6, v11, v9, vcc_lo
	s_delay_alu instid0(VALU_DEP_3) | instskip(SKIP_1) | instid1(VALU_DEP_3)
	v_cmp_ne_u32_e32 vcc_lo, 0, v5
	v_xor_b32_e32 v5, s4, v19
	v_cndmask_b32_e32 v3, v3, v6, vcc_lo
	s_delay_alu instid0(VALU_DEP_1) | instskip(NEXT) | instid1(VALU_DEP_1)
	v_xor_b32_e32 v3, v3, v5
	v_sub_co_u32 v8, vcc_lo, v3, v5
                                        ; implicit-def: $vgpr5_vgpr6
.LBB0_21:                               ;   in Loop: Header=BB0_15 Depth=1
	s_and_not1_saveexec_b32 s2, s3
; %bb.22:                               ;   in Loop: Header=BB0_15 Depth=1
	v_mul_hi_u32 v3, v5, v15
	s_delay_alu instid0(VALU_DEP_1) | instskip(NEXT) | instid1(VALU_DEP_1)
	v_mul_lo_u32 v6, v3, s8
	v_sub_nc_u32_e32 v5, v5, v6
	s_delay_alu instid0(VALU_DEP_1) | instskip(SKIP_1) | instid1(VALU_DEP_2)
	v_subrev_nc_u32_e32 v8, s8, v5
	v_cmp_le_u32_e32 vcc_lo, s8, v5
	v_dual_cndmask_b32 v5, v5, v8 :: v_dual_add_nc_u32 v6, 1, v3
	s_delay_alu instid0(VALU_DEP_1) | instskip(NEXT) | instid1(VALU_DEP_2)
	v_cndmask_b32_e32 v3, v3, v6, vcc_lo
	v_cmp_le_u32_e32 vcc_lo, s8, v5
	s_delay_alu instid0(VALU_DEP_2) | instskip(NEXT) | instid1(VALU_DEP_1)
	v_add_nc_u32_e32 v6, 1, v3
	v_cndmask_b32_e32 v8, v3, v6, vcc_lo
; %bb.23:                               ;   in Loop: Header=BB0_15 Depth=1
	s_or_b32 exec_lo, exec_lo, s2
	v_add_co_u32 v3, vcc_lo, v2, 1
	v_add_co_ci_u32_e32 v5, vcc_lo, 0, v10, vcc_lo
	s_delay_alu instid0(VALU_DEP_2) | instskip(NEXT) | instid1(VALU_DEP_2)
	v_mul_lo_u32 v9, v3, s25
	v_mul_lo_u32 v10, v5, s17
	v_mad_u64_u32 v[5:6], null, v3, s17, -1
	s_delay_alu instid0(VALU_DEP_1) | instskip(SKIP_1) | instid1(VALU_DEP_2)
	v_add3_u32 v6, v10, v6, v9
	v_mov_b32_e32 v9, v4
	v_or_b32_e32 v10, s16, v6
	s_delay_alu instid0(VALU_DEP_1) | instskip(SKIP_1) | instid1(SALU_CYCLE_1)
	v_cmp_ne_u64_e32 vcc_lo, 0, v[9:10]
                                        ; implicit-def: $vgpr9_vgpr10
	s_and_saveexec_b32 s2, vcc_lo
	s_xor_b32 s3, exec_lo, s2
	s_cbranch_execnz .LBB0_26
; %bb.24:                               ;   in Loop: Header=BB0_15 Depth=1
	s_and_not1_saveexec_b32 s2, s3
	s_cbranch_execnz .LBB0_27
.LBB0_25:                               ;   in Loop: Header=BB0_15 Depth=1
	s_or_b32 exec_lo, exec_lo, s2
	s_and_saveexec_b32 s34, s0
	s_cbranch_execz .LBB0_14
	s_branch .LBB0_28
.LBB0_26:                               ;   in Loop: Header=BB0_15 Depth=1
	s_add_u32 s6, s8, s16
	s_mov_b32 s4, s16
	s_mov_b32 s5, s16
	s_addc_u32 s7, s16, s16
	s_delay_alu instid0(SALU_CYCLE_1) | instskip(NEXT) | instid1(SALU_CYCLE_1)
	s_xor_b64 s[6:7], s[6:7], s[4:5]
	v_cvt_f32_u32_e32 v3, s6
	v_cvt_f32_u32_e32 v9, s7
	s_sub_u32 s2, 0, s6
	s_subb_u32 s5, 0, s7
	s_delay_alu instid0(VALU_DEP_1) | instskip(NEXT) | instid1(VALU_DEP_1)
	v_fmac_f32_e32 v3, 0x4f800000, v9
	v_rcp_f32_e32 v3, v3
	s_waitcnt_depctr 0xfff
	v_mul_f32_e32 v3, 0x5f7ffffc, v3
	s_delay_alu instid0(VALU_DEP_1) | instskip(NEXT) | instid1(VALU_DEP_1)
	v_mul_f32_e32 v9, 0x2f800000, v3
	v_trunc_f32_e32 v9, v9
	s_delay_alu instid0(VALU_DEP_1) | instskip(SKIP_1) | instid1(VALU_DEP_2)
	v_fmac_f32_e32 v3, 0xcf800000, v9
	v_cvt_u32_f32_e32 v9, v9
	v_cvt_u32_f32_e32 v3, v3
	s_delay_alu instid0(VALU_DEP_2) | instskip(NEXT) | instid1(VALU_DEP_2)
	v_mul_lo_u32 v10, s2, v9
	v_mul_hi_u32 v11, s2, v3
	v_mul_lo_u32 v16, s5, v3
	s_delay_alu instid0(VALU_DEP_2) | instskip(SKIP_1) | instid1(VALU_DEP_2)
	v_add_nc_u32_e32 v10, v11, v10
	v_mul_lo_u32 v11, s2, v3
	v_add_nc_u32_e32 v10, v10, v16
	s_delay_alu instid0(VALU_DEP_2) | instskip(NEXT) | instid1(VALU_DEP_2)
	v_mul_hi_u32 v16, v3, v11
	v_mul_lo_u32 v17, v3, v10
	v_mul_hi_u32 v18, v3, v10
	v_mul_hi_u32 v19, v9, v11
	v_mul_lo_u32 v11, v9, v11
	v_mul_hi_u32 v20, v9, v10
	v_mul_lo_u32 v10, v9, v10
	v_add_co_u32 v16, vcc_lo, v16, v17
	v_add_co_ci_u32_e32 v17, vcc_lo, 0, v18, vcc_lo
	s_delay_alu instid0(VALU_DEP_2) | instskip(NEXT) | instid1(VALU_DEP_2)
	v_add_co_u32 v11, vcc_lo, v16, v11
	v_add_co_ci_u32_e32 v11, vcc_lo, v17, v19, vcc_lo
	v_add_co_ci_u32_e32 v16, vcc_lo, 0, v20, vcc_lo
	v_ashrrev_i32_e32 v19, 31, v6
	s_delay_alu instid0(VALU_DEP_3) | instskip(NEXT) | instid1(VALU_DEP_3)
	v_add_co_u32 v10, vcc_lo, v11, v10
	v_add_co_ci_u32_e32 v11, vcc_lo, 0, v16, vcc_lo
	s_delay_alu instid0(VALU_DEP_2) | instskip(NEXT) | instid1(VALU_DEP_2)
	v_add_co_u32 v3, vcc_lo, v3, v10
	v_add_co_ci_u32_e32 v9, vcc_lo, v9, v11, vcc_lo
	s_delay_alu instid0(VALU_DEP_2) | instskip(SKIP_1) | instid1(VALU_DEP_3)
	v_mul_hi_u32 v10, s2, v3
	v_mul_lo_u32 v16, s5, v3
	v_mul_lo_u32 v11, s2, v9
	s_delay_alu instid0(VALU_DEP_1) | instskip(SKIP_1) | instid1(VALU_DEP_2)
	v_add_nc_u32_e32 v10, v10, v11
	v_mul_lo_u32 v11, s2, v3
	v_add_nc_u32_e32 v10, v10, v16
	s_delay_alu instid0(VALU_DEP_2) | instskip(NEXT) | instid1(VALU_DEP_2)
	v_mul_hi_u32 v16, v3, v11
	v_mul_lo_u32 v17, v3, v10
	v_mul_hi_u32 v18, v3, v10
	v_mul_hi_u32 v20, v9, v11
	v_mul_lo_u32 v11, v9, v11
	v_mul_hi_u32 v21, v9, v10
	v_mul_lo_u32 v10, v9, v10
	v_add_co_u32 v16, vcc_lo, v16, v17
	v_add_co_ci_u32_e32 v17, vcc_lo, 0, v18, vcc_lo
	s_delay_alu instid0(VALU_DEP_2) | instskip(NEXT) | instid1(VALU_DEP_2)
	v_add_co_u32 v11, vcc_lo, v16, v11
	v_add_co_ci_u32_e32 v11, vcc_lo, v17, v20, vcc_lo
	v_add_co_ci_u32_e32 v16, vcc_lo, 0, v21, vcc_lo
	v_add_co_u32 v5, vcc_lo, v5, v19
	v_add_co_ci_u32_e32 v6, vcc_lo, v6, v19, vcc_lo
	s_delay_alu instid0(VALU_DEP_4) | instskip(NEXT) | instid1(VALU_DEP_4)
	v_add_co_u32 v10, vcc_lo, v11, v10
	v_add_co_ci_u32_e32 v11, vcc_lo, 0, v16, vcc_lo
	s_delay_alu instid0(VALU_DEP_4) | instskip(NEXT) | instid1(VALU_DEP_3)
	v_xor_b32_e32 v18, v5, v19
	v_add_co_u32 v3, vcc_lo, v3, v10
	s_delay_alu instid0(VALU_DEP_3) | instskip(SKIP_1) | instid1(VALU_DEP_3)
	v_add_co_ci_u32_e32 v11, vcc_lo, v9, v11, vcc_lo
	v_xor_b32_e32 v20, v6, v19
	v_mul_hi_u32 v21, v18, v3
	s_delay_alu instid0(VALU_DEP_3) | instskip(NEXT) | instid1(VALU_DEP_3)
	v_mad_u64_u32 v[5:6], null, v18, v11, 0
	v_mad_u64_u32 v[9:10], null, v20, v3, 0
	;; [unrolled: 1-line block ×3, first 2 shown]
	s_delay_alu instid0(VALU_DEP_3) | instskip(NEXT) | instid1(VALU_DEP_4)
	v_add_co_u32 v3, vcc_lo, v21, v5
	v_add_co_ci_u32_e32 v5, vcc_lo, 0, v6, vcc_lo
	s_delay_alu instid0(VALU_DEP_2) | instskip(NEXT) | instid1(VALU_DEP_2)
	v_add_co_u32 v3, vcc_lo, v3, v9
	v_add_co_ci_u32_e32 v3, vcc_lo, v5, v10, vcc_lo
	v_add_co_ci_u32_e32 v5, vcc_lo, 0, v17, vcc_lo
	s_delay_alu instid0(VALU_DEP_2) | instskip(NEXT) | instid1(VALU_DEP_2)
	v_add_co_u32 v3, vcc_lo, v3, v16
	v_add_co_ci_u32_e32 v9, vcc_lo, 0, v5, vcc_lo
	s_delay_alu instid0(VALU_DEP_2) | instskip(SKIP_1) | instid1(VALU_DEP_3)
	v_mul_lo_u32 v10, s7, v3
	v_mad_u64_u32 v[5:6], null, s6, v3, 0
	v_mul_lo_u32 v9, s6, v9
	s_delay_alu instid0(VALU_DEP_2) | instskip(NEXT) | instid1(VALU_DEP_2)
	v_sub_co_u32 v5, vcc_lo, v18, v5
	v_add3_u32 v6, v6, v9, v10
	v_add_co_u32 v10, s2, v3, 2
	s_delay_alu instid0(VALU_DEP_2) | instskip(NEXT) | instid1(VALU_DEP_1)
	v_sub_nc_u32_e32 v9, v20, v6
	v_subrev_co_ci_u32_e64 v9, s2, s7, v9, vcc_lo
	v_sub_co_u32 v11, s2, v5, s6
	v_sub_co_ci_u32_e32 v6, vcc_lo, v20, v6, vcc_lo
	s_delay_alu instid0(VALU_DEP_3) | instskip(NEXT) | instid1(VALU_DEP_3)
	v_subrev_co_ci_u32_e64 v9, s2, 0, v9, s2
	v_cmp_le_u32_e32 vcc_lo, s6, v11
	v_cndmask_b32_e64 v11, 0, -1, vcc_lo
	s_delay_alu instid0(VALU_DEP_3)
	v_cmp_le_u32_e32 vcc_lo, s7, v9
	v_cndmask_b32_e64 v16, 0, -1, vcc_lo
	v_cmp_le_u32_e32 vcc_lo, s6, v5
	v_cndmask_b32_e64 v5, 0, -1, vcc_lo
	;; [unrolled: 2-line block ×3, first 2 shown]
	v_cmp_eq_u32_e32 vcc_lo, s7, v9
	v_cndmask_b32_e32 v9, v16, v11, vcc_lo
	v_add_co_u32 v11, vcc_lo, v3, 1
	v_cmp_eq_u32_e32 vcc_lo, s7, v6
	v_cndmask_b32_e32 v5, v17, v5, vcc_lo
	s_delay_alu instid0(VALU_DEP_4) | instskip(NEXT) | instid1(VALU_DEP_4)
	v_cmp_ne_u32_e32 vcc_lo, 0, v9
	v_cndmask_b32_e32 v6, v11, v10, vcc_lo
	s_delay_alu instid0(VALU_DEP_3) | instskip(SKIP_1) | instid1(VALU_DEP_3)
	v_cmp_ne_u32_e32 vcc_lo, 0, v5
	v_xor_b32_e32 v5, s4, v19
	v_cndmask_b32_e32 v3, v3, v6, vcc_lo
	s_delay_alu instid0(VALU_DEP_1) | instskip(NEXT) | instid1(VALU_DEP_1)
	v_xor_b32_e32 v3, v3, v5
	v_sub_co_u32 v9, vcc_lo, v3, v5
                                        ; implicit-def: $vgpr5_vgpr6
	s_and_not1_saveexec_b32 s2, s3
	s_cbranch_execz .LBB0_25
.LBB0_27:                               ;   in Loop: Header=BB0_15 Depth=1
	v_mul_hi_u32 v3, v5, v15
	s_delay_alu instid0(VALU_DEP_1) | instskip(NEXT) | instid1(VALU_DEP_1)
	v_mul_lo_u32 v6, v3, s8
	v_sub_nc_u32_e32 v5, v5, v6
	s_delay_alu instid0(VALU_DEP_1) | instskip(SKIP_1) | instid1(VALU_DEP_2)
	v_subrev_nc_u32_e32 v9, s8, v5
	v_cmp_le_u32_e32 vcc_lo, s8, v5
	v_dual_cndmask_b32 v5, v5, v9 :: v_dual_add_nc_u32 v6, 1, v3
	s_delay_alu instid0(VALU_DEP_1) | instskip(NEXT) | instid1(VALU_DEP_2)
	v_cndmask_b32_e32 v3, v3, v6, vcc_lo
	v_cmp_le_u32_e32 vcc_lo, s8, v5
	s_delay_alu instid0(VALU_DEP_2) | instskip(NEXT) | instid1(VALU_DEP_1)
	v_add_nc_u32_e32 v6, 1, v3
	v_cndmask_b32_e32 v9, v3, v6, vcc_lo
	s_or_b32 exec_lo, exec_lo, s2
	s_and_saveexec_b32 s34, s0
	s_cbranch_execz .LBB0_14
.LBB0_28:                               ;   in Loop: Header=BB0_15 Depth=1
	s_delay_alu instid0(VALU_DEP_1) | instskip(SKIP_2) | instid1(VALU_DEP_2)
	v_mad_u64_u32 v[5:6], null, v7, s17, v[8:9]
	v_mul_lo_u32 v6, v2, s21
	s_mov_b32 s35, 0
	v_sub_nc_u32_e32 v3, v9, v5
	s_delay_alu instid0(VALU_DEP_2) | instskip(NEXT) | instid1(VALU_DEP_2)
	v_ashrrev_i32_e32 v7, 31, v6
	v_dual_mov_b32 v3, v0 :: v_dual_add_nc_u32 v16, 1, v3
	s_delay_alu instid0(VALU_DEP_2) | instskip(NEXT) | instid1(VALU_DEP_2)
	v_lshlrev_b64 v[6:7], 3, v[6:7]
	v_mul_lo_u32 v17, v16, v12
	v_cmp_lt_i32_e64 s2, 0, v16
	s_delay_alu instid0(VALU_DEP_3) | instskip(NEXT) | instid1(VALU_DEP_4)
	v_add_co_u32 v18, vcc_lo, s22, v6
	v_add_co_ci_u32_e32 v19, vcc_lo, s23, v7, vcc_lo
	s_branch .LBB0_30
.LBB0_29:                               ;   in Loop: Header=BB0_30 Depth=2
	s_delay_alu instid0(VALU_DEP_1) | instskip(NEXT) | instid1(VALU_DEP_1)
	v_mul_lo_u32 v8, v17, v9
	v_cvt_f64_i32_e32 v[8:9], v8
	s_delay_alu instid0(VALU_DEP_1) | instskip(NEXT) | instid1(VALU_DEP_1)
	v_div_scale_f64 v[10:11], null, v[8:9], v[8:9], v[6:7]
	v_rcp_f64_e32 v[20:21], v[10:11]
	s_waitcnt_depctr 0xfff
	v_fma_f64 v[22:23], -v[10:11], v[20:21], 1.0
	s_delay_alu instid0(VALU_DEP_1) | instskip(NEXT) | instid1(VALU_DEP_1)
	v_fma_f64 v[20:21], v[20:21], v[22:23], v[20:21]
	v_fma_f64 v[22:23], -v[10:11], v[20:21], 1.0
	s_delay_alu instid0(VALU_DEP_1) | instskip(SKIP_1) | instid1(VALU_DEP_1)
	v_fma_f64 v[20:21], v[20:21], v[22:23], v[20:21]
	v_div_scale_f64 v[22:23], vcc_lo, v[6:7], v[8:9], v[6:7]
	v_mul_f64 v[24:25], v[22:23], v[20:21]
	s_delay_alu instid0(VALU_DEP_1) | instskip(NEXT) | instid1(VALU_DEP_1)
	v_fma_f64 v[10:11], -v[10:11], v[24:25], v[22:23]
	v_div_fmas_f64 v[10:11], v[10:11], v[20:21], v[24:25]
	s_delay_alu instid0(VALU_DEP_1) | instskip(SKIP_2) | instid1(VALU_DEP_1)
	v_div_fixup_f64 v[6:7], v[10:11], v[8:9], v[6:7]
	v_lshlrev_b64 v[8:9], 3, v[3:4]
	v_add_nc_u32_e32 v3, s24, v3
	v_cmp_le_i32_e32 vcc_lo, s21, v3
	s_delay_alu instid0(VALU_DEP_3) | instskip(NEXT) | instid1(VALU_DEP_1)
	v_add_co_u32 v8, s3, v18, v8
	v_add_co_ci_u32_e64 v9, s3, v19, v9, s3
	s_or_b32 s35, vcc_lo, s35
	global_store_b64 v[8:9], v[6:7], off
	s_and_not1_b32 exec_lo, exec_lo, s35
	s_cbranch_execz .LBB0_14
.LBB0_30:                               ;   Parent Loop BB0_15 Depth=1
                                        ; =>  This Loop Header: Depth=2
                                        ;       Child Loop BB0_46 Depth 3
                                        ;         Child Loop BB0_49 Depth 4
                                        ;           Child Loop BB0_51 Depth 5
	v_or_b32_e64 v7, 0, s19
	v_mov_b32_e32 v6, v4
	s_delay_alu instid0(VALU_DEP_1) | instskip(SKIP_1) | instid1(SALU_CYCLE_1)
	v_cmp_ne_u64_e32 vcc_lo, 0, v[6:7]
                                        ; implicit-def: $vgpr6_vgpr7
	s_and_saveexec_b32 s3, vcc_lo
	s_xor_b32 s36, exec_lo, s3
	s_cbranch_execz .LBB0_32
; %bb.31:                               ;   in Loop: Header=BB0_30 Depth=2
	s_add_u32 s6, s30, s19
	s_mov_b32 s4, s19
	s_mov_b32 s5, s19
	s_addc_u32 s7, s19, s19
	s_delay_alu instid0(SALU_CYCLE_1) | instskip(NEXT) | instid1(SALU_CYCLE_1)
	s_xor_b64 s[6:7], s[6:7], s[4:5]
	v_cvt_f32_u32_e32 v6, s6
	v_cvt_f32_u32_e32 v7, s7
	s_sub_u32 s3, 0, s6
	s_subb_u32 s37, 0, s7
	s_delay_alu instid0(VALU_DEP_1) | instskip(NEXT) | instid1(VALU_DEP_1)
	v_fmac_f32_e32 v6, 0x4f800000, v7
	v_rcp_f32_e32 v6, v6
	s_waitcnt_depctr 0xfff
	v_mul_f32_e32 v6, 0x5f7ffffc, v6
	s_delay_alu instid0(VALU_DEP_1) | instskip(NEXT) | instid1(VALU_DEP_1)
	v_mul_f32_e32 v7, 0x2f800000, v6
	v_trunc_f32_e32 v7, v7
	s_delay_alu instid0(VALU_DEP_1) | instskip(SKIP_1) | instid1(VALU_DEP_2)
	v_fmac_f32_e32 v6, 0xcf800000, v7
	v_cvt_u32_f32_e32 v7, v7
	v_cvt_u32_f32_e32 v6, v6
	s_delay_alu instid0(VALU_DEP_2) | instskip(NEXT) | instid1(VALU_DEP_2)
	v_mul_lo_u32 v8, s3, v7
	v_mul_hi_u32 v9, s3, v6
	v_mul_lo_u32 v10, s37, v6
	s_delay_alu instid0(VALU_DEP_2) | instskip(SKIP_1) | instid1(VALU_DEP_2)
	v_add_nc_u32_e32 v8, v9, v8
	v_mul_lo_u32 v9, s3, v6
	v_add_nc_u32_e32 v8, v8, v10
	s_delay_alu instid0(VALU_DEP_2) | instskip(NEXT) | instid1(VALU_DEP_2)
	v_mul_hi_u32 v10, v6, v9
	v_mul_lo_u32 v11, v6, v8
	v_mul_hi_u32 v20, v6, v8
	v_mul_hi_u32 v21, v7, v9
	v_mul_lo_u32 v9, v7, v9
	v_mul_hi_u32 v22, v7, v8
	v_mul_lo_u32 v8, v7, v8
	v_add_co_u32 v10, vcc_lo, v10, v11
	v_add_co_ci_u32_e32 v11, vcc_lo, 0, v20, vcc_lo
	s_delay_alu instid0(VALU_DEP_2) | instskip(NEXT) | instid1(VALU_DEP_2)
	v_add_co_u32 v9, vcc_lo, v10, v9
	v_add_co_ci_u32_e32 v9, vcc_lo, v11, v21, vcc_lo
	v_add_co_ci_u32_e32 v10, vcc_lo, 0, v22, vcc_lo
	v_ashrrev_i32_e64 v21, 31, 0
	s_delay_alu instid0(VALU_DEP_3) | instskip(NEXT) | instid1(VALU_DEP_3)
	v_add_co_u32 v8, vcc_lo, v9, v8
	v_add_co_ci_u32_e32 v9, vcc_lo, 0, v10, vcc_lo
	s_delay_alu instid0(VALU_DEP_2) | instskip(NEXT) | instid1(VALU_DEP_2)
	v_add_co_u32 v6, vcc_lo, v6, v8
	v_add_co_ci_u32_e32 v7, vcc_lo, v7, v9, vcc_lo
	s_delay_alu instid0(VALU_DEP_2) | instskip(SKIP_1) | instid1(VALU_DEP_3)
	v_mul_hi_u32 v8, s3, v6
	v_mul_lo_u32 v10, s37, v6
	v_mul_lo_u32 v9, s3, v7
	s_delay_alu instid0(VALU_DEP_1) | instskip(SKIP_1) | instid1(VALU_DEP_2)
	v_add_nc_u32_e32 v8, v8, v9
	v_mul_lo_u32 v9, s3, v6
	v_add_nc_u32_e32 v8, v8, v10
	s_delay_alu instid0(VALU_DEP_2) | instskip(NEXT) | instid1(VALU_DEP_2)
	v_mul_hi_u32 v10, v6, v9
	v_mul_lo_u32 v11, v6, v8
	v_mul_hi_u32 v20, v6, v8
	v_mul_hi_u32 v22, v7, v9
	v_mul_lo_u32 v9, v7, v9
	v_mul_hi_u32 v23, v7, v8
	v_mul_lo_u32 v8, v7, v8
	v_add_co_u32 v10, vcc_lo, v10, v11
	v_add_co_ci_u32_e32 v11, vcc_lo, 0, v20, vcc_lo
	s_delay_alu instid0(VALU_DEP_2) | instskip(NEXT) | instid1(VALU_DEP_2)
	v_add_co_u32 v9, vcc_lo, v10, v9
	v_add_co_ci_u32_e32 v9, vcc_lo, v11, v22, vcc_lo
	v_add_co_ci_u32_e32 v10, vcc_lo, 0, v23, vcc_lo
	v_add_co_u32 v11, vcc_lo, v3, v21
	v_add_co_ci_u32_e32 v20, vcc_lo, 0, v21, vcc_lo
	s_delay_alu instid0(VALU_DEP_4) | instskip(NEXT) | instid1(VALU_DEP_4)
	v_add_co_u32 v8, vcc_lo, v9, v8
	v_add_co_ci_u32_e32 v9, vcc_lo, 0, v10, vcc_lo
	s_delay_alu instid0(VALU_DEP_4) | instskip(NEXT) | instid1(VALU_DEP_3)
	v_xor_b32_e32 v22, v11, v21
	v_add_co_u32 v10, vcc_lo, v6, v8
	s_delay_alu instid0(VALU_DEP_3) | instskip(SKIP_1) | instid1(VALU_DEP_3)
	v_add_co_ci_u32_e32 v23, vcc_lo, v7, v9, vcc_lo
	v_xor_b32_e32 v20, v20, v21
	v_mul_hi_u32 v24, v22, v10
	s_delay_alu instid0(VALU_DEP_3) | instskip(NEXT) | instid1(VALU_DEP_3)
	v_mad_u64_u32 v[6:7], null, v22, v23, 0
	v_mad_u64_u32 v[8:9], null, v20, v10, 0
	;; [unrolled: 1-line block ×3, first 2 shown]
	s_delay_alu instid0(VALU_DEP_3) | instskip(NEXT) | instid1(VALU_DEP_4)
	v_add_co_u32 v6, vcc_lo, v24, v6
	v_add_co_ci_u32_e32 v7, vcc_lo, 0, v7, vcc_lo
	s_delay_alu instid0(VALU_DEP_2) | instskip(NEXT) | instid1(VALU_DEP_2)
	v_add_co_u32 v6, vcc_lo, v6, v8
	v_add_co_ci_u32_e32 v6, vcc_lo, v7, v9, vcc_lo
	v_add_co_ci_u32_e32 v7, vcc_lo, 0, v11, vcc_lo
	s_delay_alu instid0(VALU_DEP_2) | instskip(NEXT) | instid1(VALU_DEP_2)
	v_add_co_u32 v8, vcc_lo, v6, v10
	v_add_co_ci_u32_e32 v9, vcc_lo, 0, v7, vcc_lo
	s_delay_alu instid0(VALU_DEP_2) | instskip(SKIP_1) | instid1(VALU_DEP_3)
	v_mul_lo_u32 v10, s7, v8
	v_mad_u64_u32 v[6:7], null, s6, v8, 0
	v_mul_lo_u32 v11, s6, v9
	s_delay_alu instid0(VALU_DEP_2) | instskip(NEXT) | instid1(VALU_DEP_2)
	v_sub_co_u32 v6, vcc_lo, v22, v6
	v_add3_u32 v7, v7, v11, v10
	s_delay_alu instid0(VALU_DEP_1) | instskip(NEXT) | instid1(VALU_DEP_1)
	v_sub_nc_u32_e32 v10, v20, v7
	v_subrev_co_ci_u32_e64 v10, s3, s7, v10, vcc_lo
	v_add_co_u32 v11, s3, v8, 2
	s_delay_alu instid0(VALU_DEP_1) | instskip(SKIP_3) | instid1(VALU_DEP_3)
	v_add_co_ci_u32_e64 v22, s3, 0, v9, s3
	v_sub_co_u32 v23, s3, v6, s6
	v_sub_co_ci_u32_e32 v7, vcc_lo, v20, v7, vcc_lo
	v_subrev_co_ci_u32_e64 v10, s3, 0, v10, s3
	v_cmp_le_u32_e32 vcc_lo, s6, v23
	s_delay_alu instid0(VALU_DEP_3) | instskip(SKIP_1) | instid1(VALU_DEP_4)
	v_cmp_eq_u32_e64 s3, s7, v7
	v_cndmask_b32_e64 v20, 0, -1, vcc_lo
	v_cmp_le_u32_e32 vcc_lo, s7, v10
	v_cndmask_b32_e64 v23, 0, -1, vcc_lo
	v_cmp_le_u32_e32 vcc_lo, s6, v6
	;; [unrolled: 2-line block ×3, first 2 shown]
	v_cndmask_b32_e64 v24, 0, -1, vcc_lo
	v_cmp_eq_u32_e32 vcc_lo, s7, v10
	s_delay_alu instid0(VALU_DEP_2) | instskip(SKIP_3) | instid1(VALU_DEP_3)
	v_cndmask_b32_e64 v6, v24, v6, s3
	v_cndmask_b32_e32 v10, v23, v20, vcc_lo
	v_add_co_u32 v20, vcc_lo, v8, 1
	v_add_co_ci_u32_e32 v23, vcc_lo, 0, v9, vcc_lo
	v_cmp_ne_u32_e32 vcc_lo, 0, v10
	s_delay_alu instid0(VALU_DEP_2) | instskip(SKIP_2) | instid1(VALU_DEP_3)
	v_dual_cndmask_b32 v7, v23, v22 :: v_dual_cndmask_b32 v10, v20, v11
	v_cmp_ne_u32_e32 vcc_lo, 0, v6
	v_xor_b32_e32 v6, s4, v21
	v_dual_cndmask_b32 v8, v8, v10 :: v_dual_cndmask_b32 v7, v9, v7
	v_xor_b32_e32 v9, s5, v21
	s_delay_alu instid0(VALU_DEP_2) | instskip(NEXT) | instid1(VALU_DEP_2)
	v_xor_b32_e32 v8, v8, v6
	v_xor_b32_e32 v7, v7, v9
	s_delay_alu instid0(VALU_DEP_2) | instskip(NEXT) | instid1(VALU_DEP_2)
	v_sub_co_u32 v6, vcc_lo, v8, v6
	v_sub_co_ci_u32_e32 v7, vcc_lo, v7, v9, vcc_lo
.LBB0_32:                               ;   in Loop: Header=BB0_30 Depth=2
	s_or_saveexec_b32 s3, s36
	v_cvt_f32_u32_e32 v20, s30
	s_xor_b32 exec_lo, exec_lo, s3
	s_cbranch_execz .LBB0_34
; %bb.33:                               ;   in Loop: Header=BB0_30 Depth=2
	s_delay_alu instid0(VALU_DEP_1) | instskip(SKIP_3) | instid1(VALU_DEP_1)
	v_rcp_iflag_f32_e32 v6, v20
	s_sub_i32 s4, 0, s30
	s_waitcnt_depctr 0xfff
	v_mul_f32_e32 v6, 0x4f7ffffe, v6
	v_cvt_u32_f32_e32 v6, v6
	s_delay_alu instid0(VALU_DEP_1) | instskip(NEXT) | instid1(VALU_DEP_1)
	v_mul_lo_u32 v7, s4, v6
	v_mul_hi_u32 v7, v6, v7
	s_delay_alu instid0(VALU_DEP_1) | instskip(NEXT) | instid1(VALU_DEP_1)
	v_add_nc_u32_e32 v6, v6, v7
	v_mul_hi_u32 v6, v3, v6
	s_delay_alu instid0(VALU_DEP_1) | instskip(SKIP_1) | instid1(VALU_DEP_2)
	v_mul_lo_u32 v7, v6, s30
	v_add_nc_u32_e32 v8, 1, v6
	v_sub_nc_u32_e32 v7, v3, v7
	s_delay_alu instid0(VALU_DEP_1) | instskip(SKIP_1) | instid1(VALU_DEP_2)
	v_subrev_nc_u32_e32 v9, s30, v7
	v_cmp_le_u32_e32 vcc_lo, s30, v7
	v_dual_cndmask_b32 v7, v7, v9 :: v_dual_cndmask_b32 v6, v6, v8
	s_delay_alu instid0(VALU_DEP_1) | instskip(NEXT) | instid1(VALU_DEP_2)
	v_cmp_le_u32_e32 vcc_lo, s30, v7
	v_dual_mov_b32 v7, v4 :: v_dual_add_nc_u32 v8, 1, v6
	s_delay_alu instid0(VALU_DEP_1)
	v_cndmask_b32_e32 v6, v6, v8, vcc_lo
.LBB0_34:                               ;   in Loop: Header=BB0_30 Depth=2
	s_or_b32 exec_lo, exec_lo, s3
	s_delay_alu instid0(VALU_DEP_2) | instskip(NEXT) | instid1(VALU_DEP_2)
	v_mul_lo_u32 v9, v7, s30
	v_mul_lo_u32 v10, v6, s19
	v_mad_u64_u32 v[7:8], null, v6, s30, 0
	s_delay_alu instid0(VALU_DEP_1) | instskip(NEXT) | instid1(VALU_DEP_2)
	v_add3_u32 v8, v8, v10, v9
	v_sub_co_u32 v7, vcc_lo, v3, v7
	s_delay_alu instid0(VALU_DEP_2) | instskip(NEXT) | instid1(VALU_DEP_2)
	v_sub_co_ci_u32_e32 v8, vcc_lo, 0, v8, vcc_lo
	v_mul_lo_u32 v11, v7, s26
	v_mad_u64_u32 v[9:10], null, v7, s18, 0
	s_delay_alu instid0(VALU_DEP_3) | instskip(NEXT) | instid1(VALU_DEP_1)
	v_mul_lo_u32 v7, v8, s18
	v_add3_u32 v10, v10, v11, v7
	v_mov_b32_e32 v7, v4
	s_delay_alu instid0(VALU_DEP_2) | instskip(NEXT) | instid1(VALU_DEP_1)
	v_or_b32_e32 v8, s19, v10
	v_cmp_ne_u64_e32 vcc_lo, 0, v[7:8]
                                        ; implicit-def: $vgpr7_vgpr8
	s_and_saveexec_b32 s3, vcc_lo
	s_delay_alu instid0(SALU_CYCLE_1)
	s_xor_b32 s36, exec_lo, s3
	s_cbranch_execz .LBB0_36
; %bb.35:                               ;   in Loop: Header=BB0_30 Depth=2
	s_add_u32 s6, s30, s19
	s_mov_b32 s4, s19
	s_mov_b32 s5, s19
	s_addc_u32 s7, s19, s19
	s_delay_alu instid0(SALU_CYCLE_1) | instskip(NEXT) | instid1(SALU_CYCLE_1)
	s_xor_b64 s[6:7], s[6:7], s[4:5]
	v_cvt_f32_u32_e32 v7, s6
	v_cvt_f32_u32_e32 v8, s7
	s_sub_u32 s3, 0, s6
	s_subb_u32 s5, 0, s7
	s_delay_alu instid0(VALU_DEP_1) | instskip(NEXT) | instid1(VALU_DEP_1)
	v_fmac_f32_e32 v7, 0x4f800000, v8
	v_rcp_f32_e32 v7, v7
	s_waitcnt_depctr 0xfff
	v_mul_f32_e32 v7, 0x5f7ffffc, v7
	s_delay_alu instid0(VALU_DEP_1) | instskip(NEXT) | instid1(VALU_DEP_1)
	v_mul_f32_e32 v8, 0x2f800000, v7
	v_trunc_f32_e32 v8, v8
	s_delay_alu instid0(VALU_DEP_1) | instskip(SKIP_1) | instid1(VALU_DEP_2)
	v_fmac_f32_e32 v7, 0xcf800000, v8
	v_cvt_u32_f32_e32 v8, v8
	v_cvt_u32_f32_e32 v7, v7
	s_delay_alu instid0(VALU_DEP_2) | instskip(NEXT) | instid1(VALU_DEP_2)
	v_mul_lo_u32 v11, s3, v8
	v_mul_hi_u32 v21, s3, v7
	v_mul_lo_u32 v22, s5, v7
	s_delay_alu instid0(VALU_DEP_2) | instskip(SKIP_1) | instid1(VALU_DEP_2)
	v_add_nc_u32_e32 v11, v21, v11
	v_mul_lo_u32 v21, s3, v7
	v_add_nc_u32_e32 v11, v11, v22
	s_delay_alu instid0(VALU_DEP_2) | instskip(NEXT) | instid1(VALU_DEP_2)
	v_mul_hi_u32 v22, v7, v21
	v_mul_lo_u32 v23, v7, v11
	v_mul_hi_u32 v24, v7, v11
	v_mul_hi_u32 v25, v8, v21
	v_mul_lo_u32 v21, v8, v21
	v_mul_hi_u32 v26, v8, v11
	v_mul_lo_u32 v11, v8, v11
	v_add_co_u32 v22, vcc_lo, v22, v23
	v_add_co_ci_u32_e32 v23, vcc_lo, 0, v24, vcc_lo
	s_delay_alu instid0(VALU_DEP_2) | instskip(NEXT) | instid1(VALU_DEP_2)
	v_add_co_u32 v21, vcc_lo, v22, v21
	v_add_co_ci_u32_e32 v21, vcc_lo, v23, v25, vcc_lo
	v_add_co_ci_u32_e32 v22, vcc_lo, 0, v26, vcc_lo
	v_ashrrev_i32_e32 v25, 31, v10
	s_delay_alu instid0(VALU_DEP_3) | instskip(NEXT) | instid1(VALU_DEP_3)
	v_add_co_u32 v11, vcc_lo, v21, v11
	v_add_co_ci_u32_e32 v21, vcc_lo, 0, v22, vcc_lo
	s_delay_alu instid0(VALU_DEP_2) | instskip(NEXT) | instid1(VALU_DEP_2)
	v_add_co_u32 v7, vcc_lo, v7, v11
	v_add_co_ci_u32_e32 v8, vcc_lo, v8, v21, vcc_lo
	s_delay_alu instid0(VALU_DEP_2) | instskip(SKIP_1) | instid1(VALU_DEP_3)
	v_mul_hi_u32 v11, s3, v7
	v_mul_lo_u32 v22, s5, v7
	v_mul_lo_u32 v21, s3, v8
	s_delay_alu instid0(VALU_DEP_1) | instskip(SKIP_1) | instid1(VALU_DEP_2)
	v_add_nc_u32_e32 v11, v11, v21
	v_mul_lo_u32 v21, s3, v7
	v_add_nc_u32_e32 v11, v11, v22
	s_delay_alu instid0(VALU_DEP_2) | instskip(NEXT) | instid1(VALU_DEP_2)
	v_mul_hi_u32 v22, v7, v21
	v_mul_lo_u32 v23, v7, v11
	v_mul_hi_u32 v24, v7, v11
	v_mul_hi_u32 v26, v8, v21
	v_mul_lo_u32 v21, v8, v21
	v_mul_hi_u32 v27, v8, v11
	v_mul_lo_u32 v11, v8, v11
	v_add_co_u32 v22, vcc_lo, v22, v23
	v_add_co_ci_u32_e32 v23, vcc_lo, 0, v24, vcc_lo
	s_delay_alu instid0(VALU_DEP_2) | instskip(NEXT) | instid1(VALU_DEP_2)
	v_add_co_u32 v21, vcc_lo, v22, v21
	v_add_co_ci_u32_e32 v21, vcc_lo, v23, v26, vcc_lo
	v_add_co_ci_u32_e32 v22, vcc_lo, 0, v27, vcc_lo
	v_add_co_u32 v9, vcc_lo, v9, v25
	v_add_co_ci_u32_e32 v10, vcc_lo, v10, v25, vcc_lo
	s_delay_alu instid0(VALU_DEP_4) | instskip(NEXT) | instid1(VALU_DEP_4)
	v_add_co_u32 v11, vcc_lo, v21, v11
	v_add_co_ci_u32_e32 v21, vcc_lo, 0, v22, vcc_lo
	s_delay_alu instid0(VALU_DEP_4) | instskip(NEXT) | instid1(VALU_DEP_3)
	v_xor_b32_e32 v23, v9, v25
	v_add_co_u32 v11, vcc_lo, v7, v11
	s_delay_alu instid0(VALU_DEP_3) | instskip(SKIP_1) | instid1(VALU_DEP_3)
	v_add_co_ci_u32_e32 v24, vcc_lo, v8, v21, vcc_lo
	v_xor_b32_e32 v26, v10, v25
	v_mul_hi_u32 v27, v23, v11
	s_delay_alu instid0(VALU_DEP_3) | instskip(NEXT) | instid1(VALU_DEP_3)
	v_mad_u64_u32 v[7:8], null, v23, v24, 0
	v_mad_u64_u32 v[9:10], null, v26, v11, 0
	v_mad_u64_u32 v[21:22], null, v26, v24, 0
	s_delay_alu instid0(VALU_DEP_3) | instskip(NEXT) | instid1(VALU_DEP_4)
	v_add_co_u32 v7, vcc_lo, v27, v7
	v_add_co_ci_u32_e32 v8, vcc_lo, 0, v8, vcc_lo
	s_delay_alu instid0(VALU_DEP_2) | instskip(NEXT) | instid1(VALU_DEP_2)
	v_add_co_u32 v7, vcc_lo, v7, v9
	v_add_co_ci_u32_e32 v7, vcc_lo, v8, v10, vcc_lo
	v_add_co_ci_u32_e32 v8, vcc_lo, 0, v22, vcc_lo
	s_delay_alu instid0(VALU_DEP_2) | instskip(NEXT) | instid1(VALU_DEP_2)
	v_add_co_u32 v9, vcc_lo, v7, v21
	v_add_co_ci_u32_e32 v10, vcc_lo, 0, v8, vcc_lo
	s_delay_alu instid0(VALU_DEP_2) | instskip(SKIP_1) | instid1(VALU_DEP_3)
	v_mul_lo_u32 v11, s7, v9
	v_mad_u64_u32 v[7:8], null, s6, v9, 0
	v_mul_lo_u32 v10, s6, v10
	s_delay_alu instid0(VALU_DEP_2) | instskip(NEXT) | instid1(VALU_DEP_2)
	v_sub_co_u32 v7, vcc_lo, v23, v7
	v_add3_u32 v8, v8, v10, v11
	v_add_co_u32 v11, s3, v9, 2
	s_delay_alu instid0(VALU_DEP_2) | instskip(NEXT) | instid1(VALU_DEP_1)
	v_sub_nc_u32_e32 v10, v26, v8
	v_subrev_co_ci_u32_e64 v10, s3, s7, v10, vcc_lo
	v_sub_co_u32 v21, s3, v7, s6
	v_sub_co_ci_u32_e32 v8, vcc_lo, v26, v8, vcc_lo
	s_delay_alu instid0(VALU_DEP_3) | instskip(NEXT) | instid1(VALU_DEP_3)
	v_subrev_co_ci_u32_e64 v10, s3, 0, v10, s3
	v_cmp_le_u32_e32 vcc_lo, s6, v21
	v_cndmask_b32_e64 v21, 0, -1, vcc_lo
	s_delay_alu instid0(VALU_DEP_3)
	v_cmp_le_u32_e32 vcc_lo, s7, v10
	v_cndmask_b32_e64 v22, 0, -1, vcc_lo
	v_cmp_le_u32_e32 vcc_lo, s6, v7
	v_cndmask_b32_e64 v7, 0, -1, vcc_lo
	;; [unrolled: 2-line block ×3, first 2 shown]
	v_cmp_eq_u32_e32 vcc_lo, s7, v10
	v_cndmask_b32_e32 v10, v22, v21, vcc_lo
	v_add_co_u32 v21, vcc_lo, v9, 1
	v_cmp_eq_u32_e32 vcc_lo, s7, v8
	v_cndmask_b32_e32 v7, v23, v7, vcc_lo
	s_delay_alu instid0(VALU_DEP_4) | instskip(NEXT) | instid1(VALU_DEP_4)
	v_cmp_ne_u32_e32 vcc_lo, 0, v10
	v_cndmask_b32_e32 v8, v21, v11, vcc_lo
	s_delay_alu instid0(VALU_DEP_3) | instskip(NEXT) | instid1(VALU_DEP_2)
	v_cmp_ne_u32_e32 vcc_lo, 0, v7
	v_cndmask_b32_e32 v7, v9, v8, vcc_lo
	v_xor_b32_e32 v8, s4, v25
                                        ; implicit-def: $vgpr9_vgpr10
	s_delay_alu instid0(VALU_DEP_1) | instskip(NEXT) | instid1(VALU_DEP_1)
	v_xor_b32_e32 v7, v7, v8
	v_sub_co_u32 v7, vcc_lo, v7, v8
.LBB0_36:                               ;   in Loop: Header=BB0_30 Depth=2
	s_and_not1_saveexec_b32 s3, s36
	s_cbranch_execz .LBB0_38
; %bb.37:                               ;   in Loop: Header=BB0_30 Depth=2
	v_rcp_iflag_f32_e32 v7, v20
	s_sub_i32 s4, 0, s30
	s_waitcnt_depctr 0xfff
	v_mul_f32_e32 v7, 0x4f7ffffe, v7
	s_delay_alu instid0(VALU_DEP_1) | instskip(NEXT) | instid1(VALU_DEP_1)
	v_cvt_u32_f32_e32 v7, v7
	v_mul_lo_u32 v8, s4, v7
	s_delay_alu instid0(VALU_DEP_1) | instskip(NEXT) | instid1(VALU_DEP_1)
	v_mul_hi_u32 v8, v7, v8
	v_add_nc_u32_e32 v7, v7, v8
	s_delay_alu instid0(VALU_DEP_1) | instskip(NEXT) | instid1(VALU_DEP_1)
	v_mul_hi_u32 v7, v9, v7
	v_mul_lo_u32 v8, v7, s30
	s_delay_alu instid0(VALU_DEP_1) | instskip(SKIP_1) | instid1(VALU_DEP_2)
	v_sub_nc_u32_e32 v8, v9, v8
	v_add_nc_u32_e32 v9, 1, v7
	v_subrev_nc_u32_e32 v10, s30, v8
	v_cmp_le_u32_e32 vcc_lo, s30, v8
	s_delay_alu instid0(VALU_DEP_2) | instskip(NEXT) | instid1(VALU_DEP_1)
	v_dual_cndmask_b32 v8, v8, v10 :: v_dual_cndmask_b32 v7, v7, v9
	v_cmp_le_u32_e32 vcc_lo, s30, v8
	s_delay_alu instid0(VALU_DEP_2) | instskip(NEXT) | instid1(VALU_DEP_1)
	v_add_nc_u32_e32 v9, 1, v7
	v_cndmask_b32_e32 v7, v7, v9, vcc_lo
.LBB0_38:                               ;   in Loop: Header=BB0_30 Depth=2
	s_or_b32 exec_lo, exec_lo, s3
	v_add_co_u32 v10, s3, v3, 1
	s_delay_alu instid0(VALU_DEP_1) | instskip(NEXT) | instid1(VALU_DEP_2)
	v_add_co_ci_u32_e64 v8, null, 0, 0, s3
	v_mul_lo_u32 v11, v10, s26
	s_delay_alu instid0(VALU_DEP_2) | instskip(SKIP_2) | instid1(VALU_DEP_2)
	v_mul_lo_u32 v21, v8, s18
	v_mad_u64_u32 v[8:9], null, v10, s18, -1
	v_mov_b32_e32 v10, v4
	v_add3_u32 v9, v21, v9, v11
	s_delay_alu instid0(VALU_DEP_1) | instskip(NEXT) | instid1(VALU_DEP_1)
	v_or_b32_e32 v11, s19, v9
	v_cmp_ne_u64_e32 vcc_lo, 0, v[10:11]
                                        ; implicit-def: $vgpr10_vgpr11
	s_and_saveexec_b32 s3, vcc_lo
	s_delay_alu instid0(SALU_CYCLE_1)
	s_xor_b32 s36, exec_lo, s3
	s_cbranch_execz .LBB0_40
; %bb.39:                               ;   in Loop: Header=BB0_30 Depth=2
	s_add_u32 s6, s30, s19
	s_mov_b32 s4, s19
	s_mov_b32 s5, s19
	s_addc_u32 s7, s19, s19
	s_delay_alu instid0(SALU_CYCLE_1) | instskip(NEXT) | instid1(SALU_CYCLE_1)
	s_xor_b64 s[6:7], s[6:7], s[4:5]
	v_cvt_f32_u32_e32 v10, s6
	v_cvt_f32_u32_e32 v11, s7
	s_sub_u32 s3, 0, s6
	s_subb_u32 s5, 0, s7
	s_delay_alu instid0(VALU_DEP_1) | instskip(NEXT) | instid1(VALU_DEP_1)
	v_fmac_f32_e32 v10, 0x4f800000, v11
	v_rcp_f32_e32 v10, v10
	s_waitcnt_depctr 0xfff
	v_mul_f32_e32 v10, 0x5f7ffffc, v10
	s_delay_alu instid0(VALU_DEP_1) | instskip(NEXT) | instid1(VALU_DEP_1)
	v_mul_f32_e32 v11, 0x2f800000, v10
	v_trunc_f32_e32 v11, v11
	s_delay_alu instid0(VALU_DEP_1) | instskip(SKIP_1) | instid1(VALU_DEP_2)
	v_fmac_f32_e32 v10, 0xcf800000, v11
	v_cvt_u32_f32_e32 v11, v11
	v_cvt_u32_f32_e32 v10, v10
	s_delay_alu instid0(VALU_DEP_2) | instskip(NEXT) | instid1(VALU_DEP_2)
	v_mul_lo_u32 v20, s3, v11
	v_mul_hi_u32 v21, s3, v10
	v_mul_lo_u32 v22, s5, v10
	s_delay_alu instid0(VALU_DEP_2) | instskip(SKIP_1) | instid1(VALU_DEP_2)
	v_add_nc_u32_e32 v20, v21, v20
	v_mul_lo_u32 v21, s3, v10
	v_add_nc_u32_e32 v20, v20, v22
	s_delay_alu instid0(VALU_DEP_2) | instskip(NEXT) | instid1(VALU_DEP_2)
	v_mul_hi_u32 v22, v10, v21
	v_mul_lo_u32 v23, v10, v20
	v_mul_hi_u32 v24, v10, v20
	v_mul_hi_u32 v25, v11, v21
	v_mul_lo_u32 v21, v11, v21
	v_mul_hi_u32 v26, v11, v20
	v_mul_lo_u32 v20, v11, v20
	v_add_co_u32 v22, vcc_lo, v22, v23
	v_add_co_ci_u32_e32 v23, vcc_lo, 0, v24, vcc_lo
	s_delay_alu instid0(VALU_DEP_2) | instskip(NEXT) | instid1(VALU_DEP_2)
	v_add_co_u32 v21, vcc_lo, v22, v21
	v_add_co_ci_u32_e32 v21, vcc_lo, v23, v25, vcc_lo
	v_add_co_ci_u32_e32 v22, vcc_lo, 0, v26, vcc_lo
	v_ashrrev_i32_e32 v25, 31, v9
	s_delay_alu instid0(VALU_DEP_3) | instskip(NEXT) | instid1(VALU_DEP_3)
	v_add_co_u32 v20, vcc_lo, v21, v20
	v_add_co_ci_u32_e32 v21, vcc_lo, 0, v22, vcc_lo
	s_delay_alu instid0(VALU_DEP_2) | instskip(NEXT) | instid1(VALU_DEP_2)
	v_add_co_u32 v10, vcc_lo, v10, v20
	v_add_co_ci_u32_e32 v11, vcc_lo, v11, v21, vcc_lo
	s_delay_alu instid0(VALU_DEP_2) | instskip(SKIP_1) | instid1(VALU_DEP_3)
	v_mul_hi_u32 v20, s3, v10
	v_mul_lo_u32 v22, s5, v10
	v_mul_lo_u32 v21, s3, v11
	s_delay_alu instid0(VALU_DEP_1) | instskip(SKIP_1) | instid1(VALU_DEP_2)
	v_add_nc_u32_e32 v20, v20, v21
	v_mul_lo_u32 v21, s3, v10
	v_add_nc_u32_e32 v20, v20, v22
	s_delay_alu instid0(VALU_DEP_2) | instskip(NEXT) | instid1(VALU_DEP_2)
	v_mul_hi_u32 v22, v10, v21
	v_mul_lo_u32 v23, v10, v20
	v_mul_hi_u32 v24, v10, v20
	v_mul_hi_u32 v26, v11, v21
	v_mul_lo_u32 v21, v11, v21
	v_mul_hi_u32 v27, v11, v20
	v_mul_lo_u32 v20, v11, v20
	v_add_co_u32 v22, vcc_lo, v22, v23
	v_add_co_ci_u32_e32 v23, vcc_lo, 0, v24, vcc_lo
	s_delay_alu instid0(VALU_DEP_2) | instskip(NEXT) | instid1(VALU_DEP_2)
	v_add_co_u32 v21, vcc_lo, v22, v21
	v_add_co_ci_u32_e32 v21, vcc_lo, v23, v26, vcc_lo
	v_add_co_ci_u32_e32 v22, vcc_lo, 0, v27, vcc_lo
	v_add_co_u32 v8, vcc_lo, v8, v25
	v_add_co_ci_u32_e32 v9, vcc_lo, v9, v25, vcc_lo
	s_delay_alu instid0(VALU_DEP_4) | instskip(NEXT) | instid1(VALU_DEP_4)
	v_add_co_u32 v20, vcc_lo, v21, v20
	v_add_co_ci_u32_e32 v21, vcc_lo, 0, v22, vcc_lo
	s_delay_alu instid0(VALU_DEP_4) | instskip(NEXT) | instid1(VALU_DEP_3)
	v_xor_b32_e32 v22, v8, v25
	v_add_co_u32 v20, vcc_lo, v10, v20
	s_delay_alu instid0(VALU_DEP_3) | instskip(SKIP_1) | instid1(VALU_DEP_3)
	v_add_co_ci_u32_e32 v23, vcc_lo, v11, v21, vcc_lo
	v_xor_b32_e32 v24, v9, v25
	v_mul_hi_u32 v26, v22, v20
	s_delay_alu instid0(VALU_DEP_3) | instskip(NEXT) | instid1(VALU_DEP_3)
	v_mad_u64_u32 v[8:9], null, v22, v23, 0
	v_mad_u64_u32 v[10:11], null, v24, v20, 0
	;; [unrolled: 1-line block ×3, first 2 shown]
	s_delay_alu instid0(VALU_DEP_3) | instskip(NEXT) | instid1(VALU_DEP_4)
	v_add_co_u32 v8, vcc_lo, v26, v8
	v_add_co_ci_u32_e32 v9, vcc_lo, 0, v9, vcc_lo
	s_delay_alu instid0(VALU_DEP_2) | instskip(NEXT) | instid1(VALU_DEP_2)
	v_add_co_u32 v8, vcc_lo, v8, v10
	v_add_co_ci_u32_e32 v8, vcc_lo, v9, v11, vcc_lo
	v_add_co_ci_u32_e32 v9, vcc_lo, 0, v21, vcc_lo
	s_delay_alu instid0(VALU_DEP_2) | instskip(NEXT) | instid1(VALU_DEP_2)
	v_add_co_u32 v10, vcc_lo, v8, v20
	v_add_co_ci_u32_e32 v11, vcc_lo, 0, v9, vcc_lo
	s_delay_alu instid0(VALU_DEP_2) | instskip(SKIP_1) | instid1(VALU_DEP_3)
	v_mul_lo_u32 v20, s7, v10
	v_mad_u64_u32 v[8:9], null, s6, v10, 0
	v_mul_lo_u32 v11, s6, v11
	s_delay_alu instid0(VALU_DEP_2) | instskip(NEXT) | instid1(VALU_DEP_2)
	v_sub_co_u32 v8, vcc_lo, v22, v8
	v_add3_u32 v9, v9, v11, v20
	v_add_co_u32 v20, s3, v10, 2
	s_delay_alu instid0(VALU_DEP_2) | instskip(NEXT) | instid1(VALU_DEP_1)
	v_sub_nc_u32_e32 v11, v24, v9
	v_subrev_co_ci_u32_e64 v11, s3, s7, v11, vcc_lo
	v_sub_co_u32 v21, s3, v8, s6
	v_sub_co_ci_u32_e32 v9, vcc_lo, v24, v9, vcc_lo
	s_delay_alu instid0(VALU_DEP_3) | instskip(NEXT) | instid1(VALU_DEP_3)
	v_subrev_co_ci_u32_e64 v11, s3, 0, v11, s3
	v_cmp_le_u32_e32 vcc_lo, s6, v21
	v_cndmask_b32_e64 v21, 0, -1, vcc_lo
	s_delay_alu instid0(VALU_DEP_3)
	v_cmp_le_u32_e32 vcc_lo, s7, v11
	v_cndmask_b32_e64 v22, 0, -1, vcc_lo
	v_cmp_le_u32_e32 vcc_lo, s6, v8
	v_cndmask_b32_e64 v8, 0, -1, vcc_lo
	;; [unrolled: 2-line block ×3, first 2 shown]
	v_cmp_eq_u32_e32 vcc_lo, s7, v11
	v_cndmask_b32_e32 v11, v22, v21, vcc_lo
	v_add_co_u32 v21, vcc_lo, v10, 1
	v_cmp_eq_u32_e32 vcc_lo, s7, v9
	v_cndmask_b32_e32 v8, v23, v8, vcc_lo
	s_delay_alu instid0(VALU_DEP_4) | instskip(NEXT) | instid1(VALU_DEP_4)
	v_cmp_ne_u32_e32 vcc_lo, 0, v11
	v_cndmask_b32_e32 v9, v21, v20, vcc_lo
	s_delay_alu instid0(VALU_DEP_3) | instskip(NEXT) | instid1(VALU_DEP_2)
	v_cmp_ne_u32_e32 vcc_lo, 0, v8
                                        ; implicit-def: $vgpr20
	v_cndmask_b32_e32 v8, v10, v9, vcc_lo
	v_xor_b32_e32 v9, s4, v25
	s_delay_alu instid0(VALU_DEP_1) | instskip(NEXT) | instid1(VALU_DEP_1)
	v_xor_b32_e32 v8, v8, v9
	v_sub_co_u32 v10, vcc_lo, v8, v9
                                        ; implicit-def: $vgpr8_vgpr9
.LBB0_40:                               ;   in Loop: Header=BB0_30 Depth=2
	s_and_not1_saveexec_b32 s3, s36
	s_cbranch_execz .LBB0_42
; %bb.41:                               ;   in Loop: Header=BB0_30 Depth=2
	v_rcp_iflag_f32_e32 v9, v20
	s_sub_i32 s4, 0, s30
	s_waitcnt_depctr 0xfff
	v_mul_f32_e32 v9, 0x4f7ffffe, v9
	s_delay_alu instid0(VALU_DEP_1) | instskip(NEXT) | instid1(VALU_DEP_1)
	v_cvt_u32_f32_e32 v9, v9
	v_mul_lo_u32 v10, s4, v9
	s_delay_alu instid0(VALU_DEP_1) | instskip(NEXT) | instid1(VALU_DEP_1)
	v_mul_hi_u32 v10, v9, v10
	v_add_nc_u32_e32 v9, v9, v10
	s_delay_alu instid0(VALU_DEP_1) | instskip(NEXT) | instid1(VALU_DEP_1)
	v_mul_hi_u32 v9, v8, v9
	v_mul_lo_u32 v10, v9, s30
	s_delay_alu instid0(VALU_DEP_1) | instskip(SKIP_1) | instid1(VALU_DEP_2)
	v_sub_nc_u32_e32 v8, v8, v10
	v_add_nc_u32_e32 v10, 1, v9
	v_subrev_nc_u32_e32 v11, s30, v8
	v_cmp_le_u32_e32 vcc_lo, s30, v8
	s_delay_alu instid0(VALU_DEP_2) | instskip(NEXT) | instid1(VALU_DEP_1)
	v_dual_cndmask_b32 v8, v8, v11 :: v_dual_cndmask_b32 v9, v9, v10
	v_cmp_le_u32_e32 vcc_lo, s30, v8
	s_delay_alu instid0(VALU_DEP_2) | instskip(NEXT) | instid1(VALU_DEP_1)
	v_add_nc_u32_e32 v10, 1, v9
	v_cndmask_b32_e32 v10, v9, v10, vcc_lo
.LBB0_42:                               ;   in Loop: Header=BB0_30 Depth=2
	s_or_b32 exec_lo, exec_lo, s3
	v_mad_u64_u32 v[8:9], null, v6, s18, v[7:8]
	s_and_not1_b32 vcc_lo, exec_lo, s1
	s_delay_alu instid0(VALU_DEP_1) | instskip(SKIP_2) | instid1(VALU_DEP_3)
	v_sub_nc_u32_e32 v9, v10, v8
	v_mov_b32_e32 v6, 0
	v_mov_b32_e32 v7, 0
	v_add_nc_u32_e32 v9, 1, v9
	s_cbranch_vccnz .LBB0_29
; %bb.43:                               ;   in Loop: Header=BB0_30 Depth=2
	v_mov_b32_e32 v6, 0
	v_mov_b32_e32 v7, 0
	s_delay_alu instid0(VALU_DEP_3)
	v_cmp_lt_i32_e64 s3, 0, v9
	s_mov_b32 s4, 0
	s_branch .LBB0_46
.LBB0_44:                               ;   in Loop: Header=BB0_46 Depth=3
	s_or_b32 exec_lo, exec_lo, s6
.LBB0_45:                               ;   in Loop: Header=BB0_46 Depth=3
	s_delay_alu instid0(SALU_CYCLE_1) | instskip(SKIP_1) | instid1(SALU_CYCLE_1)
	s_or_b32 exec_lo, exec_lo, s5
	s_add_i32 s4, s4, 1
	v_cmp_ne_u32_e32 vcc_lo, s4, v13
	s_cbranch_vccz .LBB0_29
.LBB0_46:                               ;   Parent Loop BB0_15 Depth=1
                                        ;     Parent Loop BB0_30 Depth=2
                                        ; =>    This Loop Header: Depth=3
                                        ;         Child Loop BB0_49 Depth 4
                                        ;           Child Loop BB0_51 Depth 5
	s_and_saveexec_b32 s5, s2
	s_cbranch_execz .LBB0_45
; %bb.47:                               ;   in Loop: Header=BB0_46 Depth=3
	v_add_nc_u32_e32 v10, s4, v1
	s_mov_b32 s6, 0
	s_mov_b32 s7, 0
	s_delay_alu instid0(VALU_DEP_1) | instskip(SKIP_3) | instid1(VALU_DEP_4)
	v_ashrrev_i32_e32 v11, 31, v10
	v_mul_lo_u32 v20, v10, s11
	v_mul_hi_u32 v21, v10, s10
	v_mul_lo_u32 v10, v10, s10
	v_mul_lo_u32 v11, v11, s10
	s_delay_alu instid0(VALU_DEP_3) | instskip(NEXT) | instid1(VALU_DEP_1)
	v_add_nc_u32_e32 v20, v21, v20
	v_add_nc_u32_e32 v11, v20, v11
	s_delay_alu instid0(VALU_DEP_1) | instskip(NEXT) | instid1(VALU_DEP_1)
	v_lshlrev_b64 v[10:11], 3, v[10:11]
	v_add_co_u32 v10, vcc_lo, s9, v10
	s_delay_alu instid0(VALU_DEP_2)
	v_add_co_ci_u32_e32 v11, vcc_lo, s27, v11, vcc_lo
	s_branch .LBB0_49
.LBB0_48:                               ;   in Loop: Header=BB0_49 Depth=4
	s_or_b32 exec_lo, exec_lo, s36
	s_add_i32 s7, s7, 1
	s_delay_alu instid0(SALU_CYCLE_1) | instskip(SKIP_1) | instid1(SALU_CYCLE_1)
	v_cmp_ge_i32_e32 vcc_lo, s7, v16
	s_or_b32 s6, vcc_lo, s6
	s_and_not1_b32 exec_lo, exec_lo, s6
	s_cbranch_execz .LBB0_44
.LBB0_49:                               ;   Parent Loop BB0_15 Depth=1
                                        ;     Parent Loop BB0_30 Depth=2
                                        ;       Parent Loop BB0_46 Depth=3
                                        ; =>      This Loop Header: Depth=4
                                        ;           Child Loop BB0_51 Depth 5
	s_and_saveexec_b32 s36, s3
	s_cbranch_execz .LBB0_48
; %bb.50:                               ;   in Loop: Header=BB0_49 Depth=4
	v_add_nc_u32_e32 v22, s7, v5
	s_mov_b32 s37, 0
	s_mov_b32 s38, 0
	s_delay_alu instid0(VALU_DEP_1) | instskip(SKIP_2) | instid1(VALU_DEP_3)
	v_ashrrev_i32_e32 v23, 31, v22
	v_mul_lo_u32 v24, v22, s13
	v_mad_u64_u32 v[20:21], null, v22, s12, 0
	v_mul_lo_u32 v22, v23, s12
	s_delay_alu instid0(VALU_DEP_1) | instskip(NEXT) | instid1(VALU_DEP_1)
	v_add3_u32 v21, v21, v24, v22
	v_lshlrev_b64 v[20:21], 3, v[20:21]
	s_delay_alu instid0(VALU_DEP_1) | instskip(NEXT) | instid1(VALU_DEP_2)
	v_add_co_u32 v20, vcc_lo, v10, v20
	v_add_co_ci_u32_e32 v21, vcc_lo, v11, v21, vcc_lo
	.p2align	6
.LBB0_51:                               ;   Parent Loop BB0_15 Depth=1
                                        ;     Parent Loop BB0_30 Depth=2
                                        ;       Parent Loop BB0_46 Depth=3
                                        ;         Parent Loop BB0_49 Depth=4
                                        ; =>        This Inner Loop Header: Depth=5
	v_add_nc_u32_e32 v24, s38, v8
	s_add_i32 s38, s38, 1
	s_delay_alu instid0(VALU_DEP_1) | instskip(SKIP_2) | instid1(VALU_DEP_3)
	v_ashrrev_i32_e32 v25, 31, v24
	v_mul_lo_u32 v26, v24, s15
	v_mad_u64_u32 v[22:23], null, v24, s14, 0
	v_mul_lo_u32 v24, v25, s14
	s_delay_alu instid0(VALU_DEP_1) | instskip(NEXT) | instid1(VALU_DEP_1)
	v_add3_u32 v23, v23, v26, v24
	v_lshlrev_b64 v[22:23], 3, v[22:23]
	s_delay_alu instid0(VALU_DEP_1) | instskip(NEXT) | instid1(VALU_DEP_2)
	v_add_co_u32 v22, vcc_lo, v20, v22
	v_add_co_ci_u32_e32 v23, vcc_lo, v21, v23, vcc_lo
	v_cmp_ge_i32_e32 vcc_lo, s38, v9
	global_load_b64 v[22:23], v[22:23], off
	s_or_b32 s37, vcc_lo, s37
	s_waitcnt vmcnt(0)
	v_add_f64 v[6:7], v[6:7], v[22:23]
	s_and_not1_b32 exec_lo, exec_lo, s37
	s_cbranch_execnz .LBB0_51
; %bb.52:                               ;   in Loop: Header=BB0_49 Depth=4
	s_or_b32 exec_lo, exec_lo, s37
	s_branch .LBB0_48
.LBB0_53:
	s_nop 0
	s_sendmsg sendmsg(MSG_DEALLOC_VGPRS)
	s_endpgm
.LBB0_54:
                                        ; implicit-def: $sgpr24_sgpr25
	v_cvt_f32_u32_e32 v3, s4
	s_branch .LBB0_2
.LBB0_55:
                                        ; implicit-def: $vgpr1_vgpr2
	s_branch .LBB0_5
.LBB0_56:
                                        ; implicit-def: $vgpr4_vgpr5
	s_load_b32 s36, s[0:1], 0x6c
	s_branch .LBB0_8
.LBB0_57:
                                        ; implicit-def: $sgpr28_sgpr29
	s_load_b32 s31, s[0:1], 0x64
	s_branch .LBB0_12
	.section	.rodata,"a",@progbits
	.p2align	6, 0x0
	.amdhsa_kernel _ZN2at6native12_GLOBAL__N_119adaptiveaveragepoolIddEEvPKT_PS3_iiiiiilllllll
		.amdhsa_group_segment_fixed_size 0
		.amdhsa_private_segment_fixed_size 0
		.amdhsa_kernarg_size 352
		.amdhsa_user_sgpr_count 14
		.amdhsa_user_sgpr_dispatch_ptr 0
		.amdhsa_user_sgpr_queue_ptr 0
		.amdhsa_user_sgpr_kernarg_segment_ptr 1
		.amdhsa_user_sgpr_dispatch_id 0
		.amdhsa_user_sgpr_private_segment_size 0
		.amdhsa_wavefront_size32 1
		.amdhsa_uses_dynamic_stack 0
		.amdhsa_enable_private_segment 0
		.amdhsa_system_sgpr_workgroup_id_x 1
		.amdhsa_system_sgpr_workgroup_id_y 1
		.amdhsa_system_sgpr_workgroup_id_z 0
		.amdhsa_system_sgpr_workgroup_info 0
		.amdhsa_system_vgpr_workitem_id 1
		.amdhsa_next_free_vgpr 28
		.amdhsa_next_free_sgpr 43
		.amdhsa_reserve_vcc 1
		.amdhsa_float_round_mode_32 0
		.amdhsa_float_round_mode_16_64 0
		.amdhsa_float_denorm_mode_32 3
		.amdhsa_float_denorm_mode_16_64 3
		.amdhsa_dx10_clamp 1
		.amdhsa_ieee_mode 1
		.amdhsa_fp16_overflow 0
		.amdhsa_workgroup_processor_mode 1
		.amdhsa_memory_ordered 1
		.amdhsa_forward_progress 0
		.amdhsa_shared_vgpr_count 0
		.amdhsa_exception_fp_ieee_invalid_op 0
		.amdhsa_exception_fp_denorm_src 0
		.amdhsa_exception_fp_ieee_div_zero 0
		.amdhsa_exception_fp_ieee_overflow 0
		.amdhsa_exception_fp_ieee_underflow 0
		.amdhsa_exception_fp_ieee_inexact 0
		.amdhsa_exception_int_div_zero 0
	.end_amdhsa_kernel
	.section	.text._ZN2at6native12_GLOBAL__N_119adaptiveaveragepoolIddEEvPKT_PS3_iiiiiilllllll,"axG",@progbits,_ZN2at6native12_GLOBAL__N_119adaptiveaveragepoolIddEEvPKT_PS3_iiiiiilllllll,comdat
.Lfunc_end0:
	.size	_ZN2at6native12_GLOBAL__N_119adaptiveaveragepoolIddEEvPKT_PS3_iiiiiilllllll, .Lfunc_end0-_ZN2at6native12_GLOBAL__N_119adaptiveaveragepoolIddEEvPKT_PS3_iiiiiilllllll
                                        ; -- End function
	.section	.AMDGPU.csdata,"",@progbits
; Kernel info:
; codeLenInByte = 9636
; NumSgprs: 45
; NumVgprs: 28
; ScratchSize: 0
; MemoryBound: 0
; FloatMode: 240
; IeeeMode: 1
; LDSByteSize: 0 bytes/workgroup (compile time only)
; SGPRBlocks: 5
; VGPRBlocks: 3
; NumSGPRsForWavesPerEU: 45
; NumVGPRsForWavesPerEU: 28
; Occupancy: 16
; WaveLimiterHint : 0
; COMPUTE_PGM_RSRC2:SCRATCH_EN: 0
; COMPUTE_PGM_RSRC2:USER_SGPR: 14
; COMPUTE_PGM_RSRC2:TRAP_HANDLER: 0
; COMPUTE_PGM_RSRC2:TGID_X_EN: 1
; COMPUTE_PGM_RSRC2:TGID_Y_EN: 1
; COMPUTE_PGM_RSRC2:TGID_Z_EN: 0
; COMPUTE_PGM_RSRC2:TIDIG_COMP_CNT: 1
	.section	.text._ZN2at6native12_GLOBAL__N_119adaptiveaveragepoolIffEEvPKT_PS3_iiiiiilllllll,"axG",@progbits,_ZN2at6native12_GLOBAL__N_119adaptiveaveragepoolIffEEvPKT_PS3_iiiiiilllllll,comdat
	.globl	_ZN2at6native12_GLOBAL__N_119adaptiveaveragepoolIffEEvPKT_PS3_iiiiiilllllll ; -- Begin function _ZN2at6native12_GLOBAL__N_119adaptiveaveragepoolIffEEvPKT_PS3_iiiiiilllllll
	.p2align	8
	.type	_ZN2at6native12_GLOBAL__N_119adaptiveaveragepoolIffEEvPKT_PS3_iiiiiilllllll,@function
_ZN2at6native12_GLOBAL__N_119adaptiveaveragepoolIffEEvPKT_PS3_iiiiiilllllll: ; @_ZN2at6native12_GLOBAL__N_119adaptiveaveragepoolIffEEvPKT_PS3_iiiiiilllllll
; %bb.0:
	s_clause 0x2
	s_load_b64 s[2:3], s[0:1], 0x58
	s_load_b128 s[16:19], s[0:1], 0x10
	s_load_b64 s[20:21], s[0:1], 0x20
	s_waitcnt lgkmcnt(0)
	s_add_u32 s22, s14, s2
	s_addc_u32 s23, 0, s3
	s_ashr_i32 s5, s19, 31
	s_mov_b32 s4, s19
	s_delay_alu instid0(SALU_CYCLE_1) | instskip(SKIP_1) | instid1(SALU_CYCLE_1)
	s_or_b64 s[2:3], s[22:23], s[4:5]
	s_mov_b32 s2, 0
	s_cmp_lg_u64 s[2:3], 0
	s_cbranch_scc0 .LBB1_54
; %bb.1:
	s_add_u32 s8, s4, s5
	s_mov_b32 s6, s5
	s_mov_b32 s7, s5
	s_addc_u32 s9, s5, s5
	s_delay_alu instid0(SALU_CYCLE_1) | instskip(NEXT) | instid1(SALU_CYCLE_1)
	s_xor_b64 s[8:9], s[8:9], s[6:7]
	v_cvt_f32_u32_e32 v1, s8
	v_cvt_f32_u32_e32 v2, s9
	s_sub_u32 s11, 0, s8
	s_subb_u32 s12, 0, s9
	s_delay_alu instid0(VALU_DEP_1) | instskip(NEXT) | instid1(VALU_DEP_1)
	v_fmamk_f32 v1, v2, 0x4f800000, v1
	v_rcp_f32_e32 v1, v1
	s_waitcnt_depctr 0xfff
	v_mul_f32_e32 v1, 0x5f7ffffc, v1
	s_delay_alu instid0(VALU_DEP_1) | instskip(NEXT) | instid1(VALU_DEP_1)
	v_mul_f32_e32 v2, 0x2f800000, v1
	v_trunc_f32_e32 v2, v2
	s_delay_alu instid0(VALU_DEP_1) | instskip(SKIP_1) | instid1(VALU_DEP_2)
	v_fmamk_f32 v1, v2, 0xcf800000, v1
	v_cvt_u32_f32_e32 v2, v2
	v_cvt_u32_f32_e32 v1, v1
	s_delay_alu instid0(VALU_DEP_2) | instskip(NEXT) | instid1(VALU_DEP_2)
	v_readfirstlane_b32 s3, v2
	v_readfirstlane_b32 s10, v1
	s_delay_alu instid0(VALU_DEP_2) | instskip(NEXT) | instid1(VALU_DEP_1)
	s_mul_i32 s13, s11, s3
	s_mul_hi_u32 s19, s11, s10
	s_mul_i32 s14, s12, s10
	s_add_i32 s13, s19, s13
	s_mul_i32 s24, s11, s10
	s_add_i32 s13, s13, s14
	s_mul_hi_u32 s19, s10, s24
	s_mul_hi_u32 s25, s3, s24
	s_mul_i32 s14, s3, s24
	s_mul_hi_u32 s24, s10, s13
	s_mul_i32 s10, s10, s13
	s_mul_hi_u32 s26, s3, s13
	s_add_u32 s10, s19, s10
	s_addc_u32 s19, 0, s24
	s_add_u32 s10, s10, s14
	s_mul_i32 s13, s3, s13
	s_addc_u32 s10, s19, s25
	s_addc_u32 s14, s26, 0
	s_add_u32 s10, s10, s13
	s_addc_u32 s13, 0, s14
	v_add_co_u32 v1, s10, v1, s10
	s_delay_alu instid0(VALU_DEP_1) | instskip(SKIP_1) | instid1(VALU_DEP_1)
	s_cmp_lg_u32 s10, 0
	s_addc_u32 s3, s3, s13
	v_readfirstlane_b32 s10, v1
	s_mul_i32 s13, s11, s3
	s_delay_alu instid0(VALU_DEP_1)
	s_mul_hi_u32 s14, s11, s10
	s_mul_i32 s12, s12, s10
	s_add_i32 s13, s14, s13
	s_mul_i32 s11, s11, s10
	s_add_i32 s13, s13, s12
	s_mul_hi_u32 s14, s3, s11
	s_mul_i32 s19, s3, s11
	s_mul_hi_u32 s11, s10, s11
	s_mul_hi_u32 s24, s10, s13
	s_mul_i32 s10, s10, s13
	s_mul_hi_u32 s12, s3, s13
	s_add_u32 s10, s11, s10
	s_addc_u32 s11, 0, s24
	s_add_u32 s10, s10, s19
	s_mul_i32 s13, s3, s13
	s_addc_u32 s10, s11, s14
	s_addc_u32 s11, s12, 0
	s_add_u32 s10, s10, s13
	s_addc_u32 s11, 0, s11
	v_add_co_u32 v1, s10, v1, s10
	s_delay_alu instid0(VALU_DEP_1) | instskip(SKIP_2) | instid1(VALU_DEP_1)
	s_cmp_lg_u32 s10, 0
	s_addc_u32 s3, s3, s11
	s_ashr_i32 s10, s23, 31
	v_readfirstlane_b32 s14, v1
	s_add_u32 s12, s22, s10
	s_mov_b32 s11, s10
	s_addc_u32 s13, s23, s10
	s_delay_alu instid0(SALU_CYCLE_1) | instskip(NEXT) | instid1(SALU_CYCLE_1)
	s_xor_b64 s[12:13], s[12:13], s[10:11]
	s_mul_i32 s24, s12, s3
	s_mul_hi_u32 s25, s12, s14
	s_mul_hi_u32 s19, s12, s3
	s_mul_hi_u32 s27, s13, s14
	s_mul_i32 s14, s13, s14
	s_add_u32 s24, s25, s24
	s_addc_u32 s19, 0, s19
	s_mul_hi_u32 s26, s13, s3
	s_add_u32 s14, s24, s14
	s_mul_i32 s3, s13, s3
	s_addc_u32 s14, s19, s27
	s_addc_u32 s19, s26, 0
	s_add_u32 s3, s14, s3
	s_addc_u32 s14, 0, s19
	s_mul_i32 s26, s8, s3
	s_mul_hi_u32 s19, s8, s3
	s_mul_i32 s25, s8, s14
	v_sub_co_u32 v1, s12, s12, s26
	s_mul_i32 s24, s9, s3
	s_add_i32 s19, s19, s25
	s_delay_alu instid0(SALU_CYCLE_1) | instskip(NEXT) | instid1(VALU_DEP_1)
	s_add_i32 s19, s19, s24
	v_sub_co_u32 v2, s25, v1, s8
	s_sub_i32 s24, s13, s19
	s_cmp_lg_u32 s12, 0
	s_subb_u32 s24, s24, s9
	s_cmp_lg_u32 s25, 0
	v_readfirstlane_b32 s25, v2
	s_subb_u32 s24, s24, 0
	s_delay_alu instid0(SALU_CYCLE_1) | instskip(SKIP_1) | instid1(VALU_DEP_1)
	s_cmp_ge_u32 s24, s9
	s_cselect_b32 s26, -1, 0
	s_cmp_ge_u32 s25, s8
	s_cselect_b32 s25, -1, 0
	s_cmp_eq_u32 s24, s9
	s_cselect_b32 s24, s25, s26
	s_add_u32 s25, s3, 1
	s_addc_u32 s26, s14, 0
	s_add_u32 s27, s3, 2
	s_addc_u32 s28, s14, 0
	s_cmp_lg_u32 s24, 0
	s_cselect_b32 s24, s27, s25
	s_cselect_b32 s25, s28, s26
	s_cmp_lg_u32 s12, 0
	v_readfirstlane_b32 s12, v1
	s_subb_u32 s13, s13, s19
	s_delay_alu instid0(SALU_CYCLE_1) | instskip(SKIP_1) | instid1(VALU_DEP_1)
	s_cmp_ge_u32 s13, s9
	s_cselect_b32 s19, -1, 0
	s_cmp_ge_u32 s12, s8
	s_cselect_b32 s8, -1, 0
	s_cmp_eq_u32 s13, s9
	s_cselect_b32 s8, s8, s19
	s_delay_alu instid0(SALU_CYCLE_1) | instskip(SKIP_3) | instid1(SALU_CYCLE_1)
	s_cmp_lg_u32 s8, 0
	s_cselect_b32 s9, s25, s14
	s_cselect_b32 s8, s24, s3
	s_xor_b64 s[6:7], s[10:11], s[6:7]
	s_xor_b64 s[8:9], s[8:9], s[6:7]
	s_delay_alu instid0(SALU_CYCLE_1)
	s_sub_u32 s24, s8, s6
	s_subb_u32 s25, s9, s7
	v_cvt_f32_u32_e32 v3, s4
	s_and_not1_b32 vcc_lo, exec_lo, s2
	s_cbranch_vccnz .LBB1_3
.LBB1_2:
	s_delay_alu instid0(VALU_DEP_1) | instskip(SKIP_4) | instid1(VALU_DEP_1)
	v_rcp_iflag_f32_e32 v1, v3
	s_sub_i32 s3, 0, s4
	s_mov_b32 s25, 0
	s_waitcnt_depctr 0xfff
	v_mul_f32_e32 v1, 0x4f7ffffe, v1
	v_cvt_u32_f32_e32 v1, v1
	s_delay_alu instid0(VALU_DEP_1) | instskip(NEXT) | instid1(VALU_DEP_1)
	v_readfirstlane_b32 s2, v1
	s_mul_i32 s3, s3, s2
	s_delay_alu instid0(SALU_CYCLE_1) | instskip(NEXT) | instid1(SALU_CYCLE_1)
	s_mul_hi_u32 s3, s2, s3
	s_add_i32 s2, s2, s3
	s_delay_alu instid0(SALU_CYCLE_1) | instskip(NEXT) | instid1(SALU_CYCLE_1)
	s_mul_hi_u32 s2, s22, s2
	s_mul_i32 s3, s2, s4
	s_add_i32 s6, s2, 1
	s_sub_i32 s3, s22, s3
	s_delay_alu instid0(SALU_CYCLE_1)
	s_sub_i32 s7, s3, s4
	s_cmp_ge_u32 s3, s4
	s_cselect_b32 s2, s6, s2
	s_cselect_b32 s3, s7, s3
	s_add_i32 s6, s2, 1
	s_cmp_ge_u32 s3, s4
	s_cselect_b32 s24, s6, s2
.LBB1_3:
	s_delay_alu instid0(SALU_CYCLE_1) | instskip(SKIP_4) | instid1(SALU_CYCLE_1)
	s_mul_i32 s2, s24, s5
	s_mul_hi_u32 s3, s24, s4
	s_mul_i32 s6, s24, s4
	s_add_i32 s2, s3, s2
	s_mul_i32 s3, s25, s4
	s_add_i32 s2, s2, s3
	s_sub_u32 s3, s22, s6
	s_subb_u32 s2, s23, s2
	s_ashr_i32 s12, s16, 31
	s_mul_hi_u32 s7, s3, s16
	s_mul_i32 s6, s3, s12
	s_mul_i32 s2, s2, s16
	s_add_i32 s6, s7, s6
	s_delay_alu instid0(SALU_CYCLE_1) | instskip(SKIP_1) | instid1(SALU_CYCLE_1)
	s_add_i32 s7, s6, s2
	s_mul_i32 s6, s3, s16
	s_or_b64 s[8:9], s[6:7], s[4:5]
	s_mov_b32 s8, 0
	s_delay_alu instid0(SALU_CYCLE_1)
	s_cmp_lg_u64 s[8:9], 0
	s_mov_b32 s9, s16
	s_cbranch_scc0 .LBB1_55
; %bb.4:
	s_add_u32 s2, s4, s5
	s_mov_b32 s10, s5
	s_mov_b32 s11, s5
	s_addc_u32 s3, s5, s5
	s_delay_alu instid0(SALU_CYCLE_1) | instskip(NEXT) | instid1(SALU_CYCLE_1)
	s_xor_b64 s[2:3], s[2:3], s[10:11]
	v_cvt_f32_u32_e32 v1, s2
	v_cvt_f32_u32_e32 v2, s3
	s_sub_u32 s16, 0, s2
	s_subb_u32 s19, 0, s3
	s_delay_alu instid0(VALU_DEP_1) | instskip(NEXT) | instid1(VALU_DEP_1)
	v_fmamk_f32 v1, v2, 0x4f800000, v1
	v_rcp_f32_e32 v1, v1
	s_waitcnt_depctr 0xfff
	v_mul_f32_e32 v1, 0x5f7ffffc, v1
	s_delay_alu instid0(VALU_DEP_1) | instskip(NEXT) | instid1(VALU_DEP_1)
	v_mul_f32_e32 v2, 0x2f800000, v1
	v_trunc_f32_e32 v2, v2
	s_delay_alu instid0(VALU_DEP_1) | instskip(SKIP_1) | instid1(VALU_DEP_2)
	v_fmamk_f32 v1, v2, 0xcf800000, v1
	v_cvt_u32_f32_e32 v2, v2
	v_cvt_u32_f32_e32 v1, v1
	s_delay_alu instid0(VALU_DEP_2) | instskip(NEXT) | instid1(VALU_DEP_2)
	v_readfirstlane_b32 s13, v2
	v_readfirstlane_b32 s14, v1
	s_delay_alu instid0(VALU_DEP_2) | instskip(NEXT) | instid1(VALU_DEP_1)
	s_mul_i32 s26, s16, s13
	s_mul_hi_u32 s28, s16, s14
	s_mul_i32 s27, s19, s14
	s_add_i32 s26, s28, s26
	s_mul_i32 s29, s16, s14
	s_add_i32 s26, s26, s27
	s_mul_hi_u32 s28, s14, s29
	s_mul_hi_u32 s30, s13, s29
	s_mul_i32 s27, s13, s29
	s_mul_hi_u32 s29, s14, s26
	s_mul_i32 s14, s14, s26
	s_mul_hi_u32 s31, s13, s26
	s_add_u32 s14, s28, s14
	s_addc_u32 s28, 0, s29
	s_add_u32 s14, s14, s27
	s_mul_i32 s26, s13, s26
	s_addc_u32 s14, s28, s30
	s_addc_u32 s27, s31, 0
	s_add_u32 s14, s14, s26
	s_addc_u32 s26, 0, s27
	v_add_co_u32 v1, s14, v1, s14
	s_delay_alu instid0(VALU_DEP_1) | instskip(SKIP_1) | instid1(VALU_DEP_1)
	s_cmp_lg_u32 s14, 0
	s_addc_u32 s13, s13, s26
	v_readfirstlane_b32 s14, v1
	s_mul_i32 s26, s16, s13
	s_delay_alu instid0(VALU_DEP_1)
	s_mul_hi_u32 s27, s16, s14
	s_mul_i32 s19, s19, s14
	s_add_i32 s26, s27, s26
	s_mul_i32 s16, s16, s14
	s_add_i32 s26, s26, s19
	s_mul_hi_u32 s27, s13, s16
	s_mul_i32 s28, s13, s16
	s_mul_hi_u32 s16, s14, s16
	s_mul_hi_u32 s29, s14, s26
	s_mul_i32 s14, s14, s26
	s_mul_hi_u32 s19, s13, s26
	s_add_u32 s14, s16, s14
	s_addc_u32 s16, 0, s29
	s_add_u32 s14, s14, s28
	s_mul_i32 s26, s13, s26
	s_addc_u32 s14, s16, s27
	s_addc_u32 s16, s19, 0
	s_add_u32 s14, s14, s26
	s_addc_u32 s16, 0, s16
	v_add_co_u32 v1, s14, v1, s14
	s_delay_alu instid0(VALU_DEP_1) | instskip(SKIP_2) | instid1(VALU_DEP_1)
	s_cmp_lg_u32 s14, 0
	s_addc_u32 s13, s13, s16
	s_ashr_i32 s26, s7, 31
	v_readfirstlane_b32 s14, v1
	s_add_u32 s28, s6, s26
	s_mov_b32 s27, s26
	s_addc_u32 s29, s7, s26
	s_delay_alu instid0(SALU_CYCLE_1) | instskip(NEXT) | instid1(SALU_CYCLE_1)
	s_xor_b64 s[28:29], s[28:29], s[26:27]
	s_mul_i32 s19, s28, s13
	s_mul_hi_u32 s30, s28, s14
	s_mul_hi_u32 s16, s28, s13
	;; [unrolled: 1-line block ×3, first 2 shown]
	s_mul_i32 s14, s29, s14
	s_add_u32 s19, s30, s19
	s_addc_u32 s16, 0, s16
	s_mul_hi_u32 s31, s29, s13
	s_add_u32 s14, s19, s14
	s_mul_i32 s13, s29, s13
	s_addc_u32 s14, s16, s33
	s_addc_u32 s16, s31, 0
	s_add_u32 s13, s14, s13
	s_addc_u32 s14, 0, s16
	s_mul_hi_u32 s16, s2, s13
	s_mul_i32 s14, s2, s14
	s_mul_i32 s30, s2, s13
	;; [unrolled: 1-line block ×3, first 2 shown]
	s_add_i32 s14, s16, s14
	v_sub_co_u32 v1, s16, s28, s30
	s_add_i32 s14, s14, s19
	s_delay_alu instid0(SALU_CYCLE_1) | instskip(SKIP_1) | instid1(VALU_DEP_1)
	s_sub_i32 s19, s29, s14
	s_cmp_lg_u32 s16, 0
	v_sub_co_u32 v2, s28, v1, s2
	s_subb_u32 s19, s19, s3
	s_cmp_lg_u32 s28, 0
	s_subb_u32 s19, s19, 0
	s_delay_alu instid0(VALU_DEP_1)
	v_cmp_le_u32_e32 vcc_lo, s2, v2
	s_cmp_ge_u32 s19, s3
	v_cmp_le_u32_e64 s2, s2, v1
	s_cselect_b32 s28, -1, 0
	s_cmp_eq_u32 s19, s3
	v_cndmask_b32_e64 v2, 0, -1, vcc_lo
	s_cselect_b32 vcc_lo, -1, 0
	s_add_u32 s19, s13, 1
	s_add_u32 s30, s13, 2
	s_cmp_lg_u32 s16, 0
	v_mov_b32_e32 v4, s30
	v_cndmask_b32_e64 v1, 0, -1, s2
	s_subb_u32 s2, s29, s14
	v_cndmask_b32_e32 v2, s28, v2, vcc_lo
	s_cmp_ge_u32 s2, s3
	s_cselect_b32 s14, -1, 0
	s_cmp_eq_u32 s2, s3
	s_cselect_b32 vcc_lo, -1, 0
	s_xor_b64 s[2:3], s[26:27], s[10:11]
	v_cndmask_b32_e32 v1, s14, v1, vcc_lo
	v_cmp_ne_u32_e32 vcc_lo, 0, v2
	v_cndmask_b32_e32 v2, s19, v4, vcc_lo
	s_delay_alu instid0(VALU_DEP_3) | instskip(NEXT) | instid1(VALU_DEP_2)
	v_cmp_ne_u32_e32 vcc_lo, 0, v1
	v_cndmask_b32_e32 v1, s13, v2, vcc_lo
	s_delay_alu instid0(VALU_DEP_1) | instskip(NEXT) | instid1(VALU_DEP_1)
	v_xor_b32_e32 v1, s2, v1
	v_sub_co_u32 v1, vcc_lo, v1, s2
	s_and_not1_b32 vcc_lo, exec_lo, s8
	s_cbranch_vccnz .LBB1_6
.LBB1_5:
	v_rcp_iflag_f32_e32 v1, v3
	s_sub_i32 s2, 0, s4
	s_waitcnt_depctr 0xfff
	v_mul_f32_e32 v1, 0x4f7ffffe, v1
	s_delay_alu instid0(VALU_DEP_1) | instskip(NEXT) | instid1(VALU_DEP_1)
	v_cvt_u32_f32_e32 v1, v1
	v_mul_lo_u32 v2, s2, v1
	s_delay_alu instid0(VALU_DEP_1) | instskip(NEXT) | instid1(VALU_DEP_1)
	v_mul_hi_u32 v2, v1, v2
	v_add_nc_u32_e32 v1, v1, v2
	s_delay_alu instid0(VALU_DEP_1) | instskip(NEXT) | instid1(VALU_DEP_1)
	v_mul_hi_u32 v1, s6, v1
	v_mul_lo_u32 v2, v1, s4
	v_add_nc_u32_e32 v4, 1, v1
	s_delay_alu instid0(VALU_DEP_2) | instskip(NEXT) | instid1(VALU_DEP_1)
	v_sub_nc_u32_e32 v2, s6, v2
	v_subrev_nc_u32_e32 v5, s4, v2
	v_cmp_le_u32_e32 vcc_lo, s4, v2
	s_delay_alu instid0(VALU_DEP_2) | instskip(NEXT) | instid1(VALU_DEP_1)
	v_dual_cndmask_b32 v2, v2, v5 :: v_dual_cndmask_b32 v1, v1, v4
	v_cmp_le_u32_e32 vcc_lo, s4, v2
	s_delay_alu instid0(VALU_DEP_2) | instskip(NEXT) | instid1(VALU_DEP_1)
	v_add_nc_u32_e32 v4, 1, v1
	v_cndmask_b32_e32 v1, v1, v4, vcc_lo
.LBB1_6:
	s_add_u32 s2, s6, s9
	s_addc_u32 s3, s7, s12
	s_add_u32 s6, s2, -1
	s_addc_u32 s7, s3, -1
	s_delay_alu instid0(SALU_CYCLE_1) | instskip(SKIP_1) | instid1(SALU_CYCLE_1)
	s_or_b64 s[8:9], s[6:7], s[4:5]
	s_mov_b32 s8, 0
	s_cmp_lg_u64 s[8:9], 0
	s_cbranch_scc0 .LBB1_56
; %bb.7:
	s_add_u32 s2, s4, s5
	s_mov_b32 s10, s5
	s_mov_b32 s11, s5
	s_addc_u32 s3, s5, s5
	s_delay_alu instid0(SALU_CYCLE_1) | instskip(NEXT) | instid1(SALU_CYCLE_1)
	s_xor_b64 s[2:3], s[2:3], s[10:11]
	v_cvt_f32_u32_e32 v2, s2
	v_cvt_f32_u32_e32 v4, s3
	s_sub_u32 s12, 0, s2
	s_subb_u32 s13, 0, s3
	s_delay_alu instid0(VALU_DEP_1) | instskip(NEXT) | instid1(VALU_DEP_1)
	v_fmamk_f32 v2, v4, 0x4f800000, v2
	v_rcp_f32_e32 v2, v2
	s_waitcnt_depctr 0xfff
	v_mul_f32_e32 v2, 0x5f7ffffc, v2
	s_delay_alu instid0(VALU_DEP_1) | instskip(NEXT) | instid1(VALU_DEP_1)
	v_mul_f32_e32 v4, 0x2f800000, v2
	v_trunc_f32_e32 v4, v4
	s_delay_alu instid0(VALU_DEP_1) | instskip(SKIP_1) | instid1(VALU_DEP_2)
	v_fmamk_f32 v2, v4, 0xcf800000, v2
	v_cvt_u32_f32_e32 v4, v4
	v_cvt_u32_f32_e32 v2, v2
	s_delay_alu instid0(VALU_DEP_2) | instskip(NEXT) | instid1(VALU_DEP_2)
	v_readfirstlane_b32 s5, v4
	v_readfirstlane_b32 s9, v2
	s_delay_alu instid0(VALU_DEP_2) | instskip(NEXT) | instid1(VALU_DEP_1)
	s_mul_i32 s14, s12, s5
	s_mul_hi_u32 s19, s12, s9
	s_mul_i32 s16, s13, s9
	s_add_i32 s14, s19, s14
	s_mul_i32 s26, s12, s9
	s_add_i32 s14, s14, s16
	s_mul_hi_u32 s19, s9, s26
	s_mul_hi_u32 s27, s5, s26
	s_mul_i32 s16, s5, s26
	s_mul_hi_u32 s26, s9, s14
	s_mul_i32 s9, s9, s14
	s_mul_hi_u32 s28, s5, s14
	s_add_u32 s9, s19, s9
	s_addc_u32 s19, 0, s26
	s_add_u32 s9, s9, s16
	s_mul_i32 s14, s5, s14
	s_addc_u32 s9, s19, s27
	s_addc_u32 s16, s28, 0
	s_add_u32 s9, s9, s14
	s_addc_u32 s14, 0, s16
	v_add_co_u32 v2, s9, v2, s9
	s_delay_alu instid0(VALU_DEP_1) | instskip(SKIP_1) | instid1(VALU_DEP_1)
	s_cmp_lg_u32 s9, 0
	s_addc_u32 s5, s5, s14
	v_readfirstlane_b32 s9, v2
	s_mul_i32 s14, s12, s5
	s_delay_alu instid0(VALU_DEP_1)
	s_mul_hi_u32 s16, s12, s9
	s_mul_i32 s13, s13, s9
	s_add_i32 s14, s16, s14
	s_mul_i32 s12, s12, s9
	s_add_i32 s14, s14, s13
	s_mul_hi_u32 s16, s5, s12
	s_mul_i32 s19, s5, s12
	s_mul_hi_u32 s12, s9, s12
	s_mul_hi_u32 s26, s9, s14
	s_mul_i32 s9, s9, s14
	s_mul_hi_u32 s13, s5, s14
	s_add_u32 s9, s12, s9
	s_addc_u32 s12, 0, s26
	s_add_u32 s9, s9, s19
	s_mul_i32 s14, s5, s14
	s_addc_u32 s9, s12, s16
	s_addc_u32 s12, s13, 0
	s_add_u32 s9, s9, s14
	s_addc_u32 s12, 0, s12
	v_add_co_u32 v2, s9, v2, s9
	s_delay_alu instid0(VALU_DEP_1) | instskip(SKIP_2) | instid1(SALU_CYCLE_1)
	s_cmp_lg_u32 s9, 0
	s_addc_u32 s5, s5, s12
	s_ashr_i32 s12, s7, 31
	s_add_u32 s26, s6, s12
	s_addc_u32 s27, s7, s12
	v_readfirstlane_b32 s7, v2
	s_mov_b32 s13, s12
	s_delay_alu instid0(SALU_CYCLE_1) | instskip(NEXT) | instid1(SALU_CYCLE_1)
	s_xor_b64 s[26:27], s[26:27], s[12:13]
	s_mul_i32 s14, s26, s5
	s_delay_alu instid0(VALU_DEP_1)
	s_mul_hi_u32 s16, s26, s7
	s_mul_hi_u32 s9, s26, s5
	s_mul_hi_u32 s28, s27, s7
	s_mul_i32 s7, s27, s7
	s_add_u32 s14, s16, s14
	s_addc_u32 s9, 0, s9
	s_mul_hi_u32 s19, s27, s5
	s_add_u32 s7, s14, s7
	s_mul_i32 s5, s27, s5
	s_addc_u32 s7, s9, s28
	s_addc_u32 s9, s19, 0
	s_add_u32 s5, s7, s5
	s_addc_u32 s7, 0, s9
	s_mul_hi_u32 s9, s2, s5
	s_mul_i32 s7, s2, s7
	s_mul_i32 s16, s2, s5
	;; [unrolled: 1-line block ×3, first 2 shown]
	s_add_i32 s7, s9, s7
	v_sub_co_u32 v2, s9, s26, s16
	s_add_i32 s7, s7, s14
	s_delay_alu instid0(SALU_CYCLE_1) | instskip(SKIP_1) | instid1(VALU_DEP_1)
	s_sub_i32 s14, s27, s7
	s_cmp_lg_u32 s9, 0
	v_sub_co_u32 v4, s16, v2, s2
	s_subb_u32 s14, s14, s3
	s_cmp_lg_u32 s16, 0
	s_subb_u32 s14, s14, 0
	s_delay_alu instid0(VALU_DEP_1)
	v_cmp_le_u32_e32 vcc_lo, s2, v4
	s_cmp_ge_u32 s14, s3
	v_cmp_le_u32_e64 s2, s2, v2
	s_cselect_b32 s16, -1, 0
	s_cmp_eq_u32 s14, s3
	v_cndmask_b32_e64 v4, 0, -1, vcc_lo
	s_cselect_b32 vcc_lo, -1, 0
	s_add_u32 s14, s5, 1
	s_add_u32 s19, s5, 2
	s_cmp_lg_u32 s9, 0
	v_mov_b32_e32 v5, s19
	v_cndmask_b32_e64 v2, 0, -1, s2
	s_subb_u32 s2, s27, s7
	v_cndmask_b32_e32 v4, s16, v4, vcc_lo
	s_cmp_ge_u32 s2, s3
	s_cselect_b32 s7, -1, 0
	s_cmp_eq_u32 s2, s3
	s_cselect_b32 vcc_lo, -1, 0
	s_xor_b64 s[2:3], s[12:13], s[10:11]
	v_cndmask_b32_e32 v2, s7, v2, vcc_lo
	v_cmp_ne_u32_e32 vcc_lo, 0, v4
	v_cndmask_b32_e32 v4, s14, v5, vcc_lo
	s_delay_alu instid0(VALU_DEP_3) | instskip(NEXT) | instid1(VALU_DEP_2)
	v_cmp_ne_u32_e32 vcc_lo, 0, v2
	v_cndmask_b32_e32 v2, s5, v4, vcc_lo
	s_delay_alu instid0(VALU_DEP_1) | instskip(NEXT) | instid1(VALU_DEP_1)
	v_xor_b32_e32 v2, s2, v2
	v_sub_co_u32 v4, vcc_lo, v2, s2
	s_load_b32 s36, s[0:1], 0x6c
	s_and_not1_b32 vcc_lo, exec_lo, s8
	s_cbranch_vccnz .LBB1_9
.LBB1_8:
	v_rcp_iflag_f32_e32 v2, v3
	s_sub_i32 s2, 0, s4
	s_waitcnt_depctr 0xfff
	v_mul_f32_e32 v2, 0x4f7ffffe, v2
	s_delay_alu instid0(VALU_DEP_1) | instskip(NEXT) | instid1(VALU_DEP_1)
	v_cvt_u32_f32_e32 v2, v2
	v_mul_lo_u32 v3, s2, v2
	s_delay_alu instid0(VALU_DEP_1) | instskip(NEXT) | instid1(VALU_DEP_1)
	v_mul_hi_u32 v3, v2, v3
	v_add_nc_u32_e32 v2, v2, v3
	s_delay_alu instid0(VALU_DEP_1) | instskip(NEXT) | instid1(VALU_DEP_1)
	v_mul_hi_u32 v2, s6, v2
	v_mul_lo_u32 v3, v2, s4
	v_add_nc_u32_e32 v4, 1, v2
	s_delay_alu instid0(VALU_DEP_2) | instskip(NEXT) | instid1(VALU_DEP_1)
	v_sub_nc_u32_e32 v3, s6, v3
	v_subrev_nc_u32_e32 v5, s4, v3
	v_cmp_le_u32_e32 vcc_lo, s4, v3
	s_delay_alu instid0(VALU_DEP_2) | instskip(NEXT) | instid1(VALU_DEP_1)
	v_dual_cndmask_b32 v3, v3, v5 :: v_dual_cndmask_b32 v2, v2, v4
	v_cmp_le_u32_e32 vcc_lo, s4, v3
	s_delay_alu instid0(VALU_DEP_2) | instskip(NEXT) | instid1(VALU_DEP_1)
	v_add_nc_u32_e32 v4, 1, v2
	v_cndmask_b32_e32 v4, v2, v4, vcc_lo
.LBB1_9:
	v_bfe_u32 v5, v0, 10, 10
	s_waitcnt lgkmcnt(0)
	s_lshr_b32 s33, s36, 16
	s_mov_b32 s2, exec_lo
	s_delay_alu instid0(VALU_DEP_1) | instskip(NEXT) | instid1(VALU_DEP_1)
	v_mad_u64_u32 v[2:3], null, s15, s33, v[5:6]
	v_cmpx_gt_i32_e64 s20, v2
	s_cbranch_execz .LBB1_53
; %bb.10:
	s_clause 0x1
	s_load_b256 s[4:11], s[0:1], 0x28
	s_load_b128 s[12:15], s[0:1], 0x48
	s_bfe_i64 s[26:27], s[24:25], 0x200000
	s_waitcnt lgkmcnt(0)
	s_or_b64 s[2:3], s[26:27], s[4:5]
	s_mov_b32 s2, 0
	s_delay_alu instid0(SALU_CYCLE_1)
	s_cmp_lg_u64 s[2:3], 0
	s_cbranch_scc0 .LBB1_57
; %bb.11:
	s_ashr_i32 s28, s5, 31
	s_delay_alu instid0(SALU_CYCLE_1) | instskip(SKIP_2) | instid1(SALU_CYCLE_1)
	s_add_u32 s30, s4, s28
	s_mov_b32 s29, s28
	s_addc_u32 s31, s5, s28
	s_xor_b64 s[30:31], s[30:31], s[28:29]
	s_delay_alu instid0(SALU_CYCLE_1) | instskip(SKIP_3) | instid1(VALU_DEP_1)
	v_cvt_f32_u32_e32 v3, s30
	v_cvt_f32_u32_e32 v5, s31
	s_sub_u32 s19, 0, s30
	s_subb_u32 s25, 0, s31
	v_fmamk_f32 v3, v5, 0x4f800000, v3
	s_delay_alu instid0(VALU_DEP_1) | instskip(SKIP_2) | instid1(VALU_DEP_1)
	v_rcp_f32_e32 v3, v3
	s_waitcnt_depctr 0xfff
	v_mul_f32_e32 v3, 0x5f7ffffc, v3
	v_mul_f32_e32 v5, 0x2f800000, v3
	s_delay_alu instid0(VALU_DEP_1) | instskip(NEXT) | instid1(VALU_DEP_1)
	v_trunc_f32_e32 v5, v5
	v_fmamk_f32 v3, v5, 0xcf800000, v3
	v_cvt_u32_f32_e32 v5, v5
	s_delay_alu instid0(VALU_DEP_2) | instskip(NEXT) | instid1(VALU_DEP_2)
	v_cvt_u32_f32_e32 v3, v3
	v_readfirstlane_b32 s3, v5
	s_delay_alu instid0(VALU_DEP_2) | instskip(NEXT) | instid1(VALU_DEP_2)
	v_readfirstlane_b32 s16, v3
	s_mul_i32 s34, s19, s3
	s_delay_alu instid0(VALU_DEP_1)
	s_mul_hi_u32 s37, s19, s16
	s_mul_i32 s35, s25, s16
	s_add_i32 s34, s37, s34
	s_mul_i32 s38, s19, s16
	s_add_i32 s34, s34, s35
	s_mul_hi_u32 s37, s16, s38
	s_mul_hi_u32 s39, s3, s38
	s_mul_i32 s35, s3, s38
	s_mul_hi_u32 s38, s16, s34
	s_mul_i32 s16, s16, s34
	s_mul_hi_u32 s40, s3, s34
	s_add_u32 s16, s37, s16
	s_addc_u32 s37, 0, s38
	s_add_u32 s16, s16, s35
	s_mul_i32 s34, s3, s34
	s_addc_u32 s16, s37, s39
	s_addc_u32 s35, s40, 0
	s_add_u32 s16, s16, s34
	s_addc_u32 s34, 0, s35
	v_add_co_u32 v3, s16, v3, s16
	s_delay_alu instid0(VALU_DEP_1) | instskip(SKIP_1) | instid1(VALU_DEP_1)
	s_cmp_lg_u32 s16, 0
	s_addc_u32 s3, s3, s34
	v_readfirstlane_b32 s16, v3
	s_mul_i32 s35, s19, s3
	s_mov_b32 s34, s27
	s_delay_alu instid0(VALU_DEP_1)
	s_mul_hi_u32 s37, s19, s16
	s_mul_i32 s25, s25, s16
	s_add_i32 s35, s37, s35
	s_mul_i32 s19, s19, s16
	s_add_i32 s35, s35, s25
	s_mul_hi_u32 s37, s3, s19
	s_mul_i32 s38, s3, s19
	s_mul_hi_u32 s19, s16, s19
	s_mul_hi_u32 s39, s16, s35
	s_mul_i32 s16, s16, s35
	s_mul_hi_u32 s25, s3, s35
	s_add_u32 s16, s19, s16
	s_addc_u32 s19, 0, s39
	s_add_u32 s16, s16, s38
	s_mul_i32 s35, s3, s35
	s_addc_u32 s16, s19, s37
	s_addc_u32 s19, s25, 0
	s_add_u32 s16, s16, s35
	s_addc_u32 s19, 0, s19
	v_add_co_u32 v3, s16, v3, s16
	s_delay_alu instid0(VALU_DEP_1)
	s_cmp_lg_u32 s16, 0
	s_mov_b32 s35, s27
	s_addc_u32 s3, s3, s19
	s_add_u32 s38, s26, s27
	v_readfirstlane_b32 s16, v3
	s_addc_u32 s39, s27, s27
	s_delay_alu instid0(SALU_CYCLE_1) | instskip(NEXT) | instid1(SALU_CYCLE_1)
	s_xor_b64 s[38:39], s[38:39], s[34:35]
	s_mul_i32 s25, s38, s3
	s_delay_alu instid0(VALU_DEP_1)
	s_mul_hi_u32 s37, s38, s16
	s_mul_hi_u32 s19, s38, s3
	;; [unrolled: 1-line block ×3, first 2 shown]
	s_mul_i32 s16, s39, s16
	s_add_u32 s25, s37, s25
	s_addc_u32 s19, 0, s19
	s_mul_hi_u32 s40, s39, s3
	s_add_u32 s16, s25, s16
	s_mul_i32 s3, s39, s3
	s_addc_u32 s16, s19, s41
	s_addc_u32 s19, s40, 0
	s_add_u32 s3, s16, s3
	s_addc_u32 s16, 0, s19
	s_mul_hi_u32 s19, s30, s3
	s_mul_i32 s37, s30, s16
	s_mul_i32 s40, s30, s3
	s_add_i32 s19, s19, s37
	v_sub_co_u32 v3, s37, s38, s40
	s_mul_i32 s25, s31, s3
	s_delay_alu instid0(SALU_CYCLE_1) | instskip(NEXT) | instid1(VALU_DEP_1)
	s_add_i32 s19, s19, s25
	v_sub_co_u32 v5, s38, v3, s30
	s_sub_i32 s25, s39, s19
	s_cmp_lg_u32 s37, 0
	s_subb_u32 s25, s25, s31
	s_cmp_lg_u32 s38, 0
	v_readfirstlane_b32 s38, v5
	s_subb_u32 s25, s25, 0
	s_delay_alu instid0(SALU_CYCLE_1) | instskip(SKIP_1) | instid1(VALU_DEP_1)
	s_cmp_ge_u32 s25, s31
	s_cselect_b32 s40, -1, 0
	s_cmp_ge_u32 s38, s30
	s_cselect_b32 s38, -1, 0
	s_cmp_eq_u32 s25, s31
	s_cselect_b32 s25, s38, s40
	s_add_u32 s38, s3, 1
	s_addc_u32 s40, s16, 0
	s_add_u32 s41, s3, 2
	s_addc_u32 s42, s16, 0
	s_cmp_lg_u32 s25, 0
	s_cselect_b32 s25, s41, s38
	s_cselect_b32 s38, s42, s40
	s_cmp_lg_u32 s37, 0
	v_readfirstlane_b32 s37, v3
	s_subb_u32 s19, s39, s19
	s_delay_alu instid0(SALU_CYCLE_1) | instskip(SKIP_1) | instid1(VALU_DEP_1)
	s_cmp_ge_u32 s19, s31
	s_cselect_b32 s39, -1, 0
	s_cmp_ge_u32 s37, s30
	s_cselect_b32 s30, -1, 0
	s_cmp_eq_u32 s19, s31
	s_cselect_b32 s19, s30, s39
	s_delay_alu instid0(SALU_CYCLE_1) | instskip(SKIP_3) | instid1(SALU_CYCLE_1)
	s_cmp_lg_u32 s19, 0
	s_cselect_b32 s31, s38, s16
	s_cselect_b32 s30, s25, s3
	s_xor_b64 s[28:29], s[34:35], s[28:29]
	s_xor_b64 s[30:31], s[30:31], s[28:29]
	s_delay_alu instid0(SALU_CYCLE_1)
	s_sub_u32 s28, s30, s28
	s_subb_u32 s29, s31, s29
	s_load_b32 s31, s[0:1], 0x64
	s_and_not1_b32 vcc_lo, exec_lo, s2
	s_cbranch_vccnz .LBB1_13
.LBB1_12:
	v_cvt_f32_u32_e32 v3, s4
	s_sub_i32 s3, 0, s4
	s_mov_b32 s29, 0
	s_delay_alu instid0(VALU_DEP_1) | instskip(SKIP_2) | instid1(VALU_DEP_1)
	v_rcp_iflag_f32_e32 v3, v3
	s_waitcnt_depctr 0xfff
	v_mul_f32_e32 v3, 0x4f7ffffe, v3
	v_cvt_u32_f32_e32 v3, v3
	s_delay_alu instid0(VALU_DEP_1) | instskip(NEXT) | instid1(VALU_DEP_1)
	v_readfirstlane_b32 s2, v3
	s_mul_i32 s3, s3, s2
	s_delay_alu instid0(SALU_CYCLE_1) | instskip(NEXT) | instid1(SALU_CYCLE_1)
	s_mul_hi_u32 s3, s2, s3
	s_add_i32 s2, s2, s3
	s_delay_alu instid0(SALU_CYCLE_1) | instskip(NEXT) | instid1(SALU_CYCLE_1)
	s_mul_hi_u32 s2, s24, s2
	s_mul_i32 s3, s2, s4
	s_add_i32 s16, s2, 1
	s_sub_i32 s3, s24, s3
	s_delay_alu instid0(SALU_CYCLE_1)
	s_sub_i32 s19, s3, s4
	s_cmp_ge_u32 s3, s4
	s_cselect_b32 s2, s16, s2
	s_cselect_b32 s3, s19, s3
	s_add_i32 s16, s2, 1
	s_cmp_ge_u32 s3, s4
	s_cselect_b32 s28, s16, s2
.LBB1_13:
	s_load_b128 s[0:3], s[0:1], 0x0
	s_mul_i32 s25, s21, s20
	s_mul_hi_i32 s24, s21, s20
	s_mul_i32 s30, s28, s5
	s_mul_i32 s5, s25, s23
	s_mul_hi_u32 s23, s25, s22
	s_mul_i32 s24, s24, s22
	s_add_i32 s5, s23, s5
	s_mul_i32 s22, s25, s22
	s_add_i32 s23, s5, s24
	s_mul_hi_u32 s34, s28, s4
	s_mul_i32 s35, s29, s4
	s_mul_i32 s25, s28, s4
	s_lshl_b64 s[4:5], s[22:23], 2
	s_ashr_i32 s16, s20, 31
	s_ashr_i32 s19, s21, 31
	s_mul_i32 s7, s28, s7
	v_sub_nc_u32_e32 v8, v4, v1
	v_and_b32_e32 v0, 0x3ff, v0
	s_waitcnt lgkmcnt(0)
	s_mul_i32 s31, s31, s33
	s_add_u32 s22, s2, s4
	s_addc_u32 s23, s3, s5
	s_add_i32 s2, s34, s30
	s_and_b32 s24, s36, 0xffff
	s_add_i32 s2, s2, s35
	s_sub_u32 s4, s26, s25
	s_subb_u32 s5, s27, s2
	s_mul_hi_u32 s27, s28, s6
	s_bfe_i64 s[2:3], s[28:29], 0x200000
	s_add_i32 s2, s27, s7
	s_mul_i32 s3, s3, s6
	s_mul_i32 s7, s4, s9
	s_mul_hi_u32 s9, s4, s8
	s_add_i32 s3, s2, s3
	s_mul_i32 s2, s28, s6
	s_add_i32 s7, s9, s7
	s_mul_i32 s5, s5, s8
	s_lshl_b64 s[2:3], s[2:3], 2
	s_ashr_i32 s25, s17, 31
	s_ashr_i32 s26, s18, 31
	s_add_i32 s5, s7, s5
	s_mul_i32 s4, s4, s8
	s_add_u32 s2, s0, s2
	s_addc_u32 s3, s1, s3
	s_lshl_b64 s[0:1], s[4:5], 2
	s_mov_b32 s8, s20
	s_add_u32 s9, s2, s0
	s_addc_u32 s27, s3, s1
	s_ashr_i32 s28, s20, 31
	v_cvt_f32_u32_e32 v5, s8
	s_add_i32 s0, s20, s28
	v_mov_b32_e32 v4, 0
	s_xor_b32 s29, s0, s28
	s_sub_i32 s1, 0, s20
	v_cvt_f32_u32_e32 v3, s29
	v_rcp_iflag_f32_e32 v5, v5
	s_sub_i32 s0, 0, s29
	s_mov_b32 s30, s21
	v_add_nc_u32_e32 v12, 1, v8
	v_rcp_iflag_f32_e32 v3, v3
	s_mov_b32 s33, 0
	s_delay_alu instid0(VALU_DEP_1) | instskip(SKIP_3) | instid1(VALU_DEP_2)
	v_max_i32_e32 v13, 1, v12
	s_waitcnt_depctr 0xfff
	v_mul_f32_e32 v5, 0x4f7ffffe, v5
	v_mul_f32_e32 v3, 0x4f7ffffe, v3
	v_cvt_u32_f32_e32 v5, v5
	s_delay_alu instid0(VALU_DEP_2) | instskip(NEXT) | instid1(VALU_DEP_2)
	v_cvt_u32_f32_e32 v3, v3
	v_mul_lo_u32 v7, s1, v5
	v_cmp_gt_u32_e64 s1, 0x7fffffff, v8
	s_delay_alu instid0(VALU_DEP_3) | instskip(SKIP_1) | instid1(VALU_DEP_4)
	v_mul_lo_u32 v6, s0, v3
	v_cmp_gt_i32_e64 s0, s21, v0
	v_mul_hi_u32 v7, v5, v7
	s_delay_alu instid0(VALU_DEP_3) | instskip(NEXT) | instid1(VALU_DEP_2)
	v_mul_hi_u32 v6, v3, v6
	v_add_nc_u32_e32 v15, v5, v7
	s_delay_alu instid0(VALU_DEP_2)
	v_add_nc_u32_e32 v14, v3, v6
	s_branch .LBB1_15
.LBB1_14:                               ;   in Loop: Header=BB1_15 Depth=1
	s_or_b32 exec_lo, exec_lo, s34
	v_add_nc_u32_e32 v2, s31, v2
	s_delay_alu instid0(VALU_DEP_1) | instskip(SKIP_1) | instid1(SALU_CYCLE_1)
	v_cmp_le_i32_e32 vcc_lo, s20, v2
	s_or_b32 s33, vcc_lo, s33
	s_and_not1_b32 exec_lo, exec_lo, s33
	s_cbranch_execz .LBB1_53
.LBB1_15:                               ; =>This Loop Header: Depth=1
                                        ;     Child Loop BB1_30 Depth 2
                                        ;       Child Loop BB1_46 Depth 3
                                        ;         Child Loop BB1_49 Depth 4
                                        ;           Child Loop BB1_51 Depth 5
	v_ashrrev_i32_e32 v10, 31, v2
	v_mov_b32_e32 v5, v4
	s_mov_b32 s2, exec_lo
                                        ; implicit-def: $vgpr7_vgpr8
	s_delay_alu instid0(VALU_DEP_2) | instskip(NEXT) | instid1(VALU_DEP_1)
	v_or_b32_e32 v6, s16, v10
	v_cmpx_ne_u64_e32 0, v[5:6]
	s_xor_b32 s2, exec_lo, s2
	s_cbranch_execz .LBB1_17
; %bb.16:                               ;   in Loop: Header=BB1_15 Depth=1
	v_ashrrev_i32_e32 v3, 31, v2
	s_delay_alu instid0(VALU_DEP_1) | instskip(NEXT) | instid1(VALU_DEP_1)
	v_add_nc_u32_e32 v5, v2, v3
	v_xor_b32_e32 v5, v5, v3
	v_xor_b32_e32 v3, s28, v3
	s_delay_alu instid0(VALU_DEP_2) | instskip(NEXT) | instid1(VALU_DEP_1)
	v_mul_hi_u32 v6, v5, v14
	v_mul_lo_u32 v7, v6, s29
	s_delay_alu instid0(VALU_DEP_1) | instskip(SKIP_1) | instid1(VALU_DEP_2)
	v_sub_nc_u32_e32 v5, v5, v7
	v_add_nc_u32_e32 v7, 1, v6
	v_subrev_nc_u32_e32 v8, s29, v5
	v_cmp_le_u32_e32 vcc_lo, s29, v5
	s_delay_alu instid0(VALU_DEP_2) | instskip(NEXT) | instid1(VALU_DEP_1)
	v_dual_cndmask_b32 v5, v5, v8 :: v_dual_cndmask_b32 v6, v6, v7
	v_cmp_le_u32_e32 vcc_lo, s29, v5
	s_delay_alu instid0(VALU_DEP_2) | instskip(NEXT) | instid1(VALU_DEP_1)
	v_add_nc_u32_e32 v7, 1, v6
	v_cndmask_b32_e32 v5, v6, v7, vcc_lo
	s_delay_alu instid0(VALU_DEP_1) | instskip(NEXT) | instid1(VALU_DEP_1)
	v_xor_b32_e32 v5, v5, v3
	v_sub_nc_u32_e32 v7, v5, v3
	s_delay_alu instid0(VALU_DEP_1)
	v_ashrrev_i32_e32 v8, 31, v7
.LBB1_17:                               ;   in Loop: Header=BB1_15 Depth=1
	s_and_not1_saveexec_b32 s2, s2
	s_cbranch_execz .LBB1_19
; %bb.18:                               ;   in Loop: Header=BB1_15 Depth=1
	v_mul_hi_u32 v3, v2, v15
	s_delay_alu instid0(VALU_DEP_1) | instskip(SKIP_1) | instid1(VALU_DEP_2)
	v_mul_lo_u32 v5, v3, s8
	v_add_nc_u32_e32 v6, 1, v3
	v_sub_nc_u32_e32 v5, v2, v5
	s_delay_alu instid0(VALU_DEP_1) | instskip(SKIP_1) | instid1(VALU_DEP_2)
	v_subrev_nc_u32_e32 v7, s8, v5
	v_cmp_le_u32_e32 vcc_lo, s8, v5
	v_cndmask_b32_e32 v5, v5, v7, vcc_lo
	v_cndmask_b32_e32 v3, v3, v6, vcc_lo
	s_delay_alu instid0(VALU_DEP_2) | instskip(NEXT) | instid1(VALU_DEP_2)
	v_cmp_le_u32_e32 vcc_lo, s8, v5
	v_add_nc_u32_e32 v6, 1, v3
	s_delay_alu instid0(VALU_DEP_1) | instskip(NEXT) | instid1(VALU_DEP_1)
	v_cndmask_b32_e32 v3, v3, v6, vcc_lo
	v_dual_mov_b32 v8, v4 :: v_dual_mov_b32 v7, v3
.LBB1_19:                               ;   in Loop: Header=BB1_15 Depth=1
	s_or_b32 exec_lo, exec_lo, s2
	s_delay_alu instid0(VALU_DEP_1) | instskip(NEXT) | instid1(VALU_DEP_2)
	v_mul_lo_u32 v3, v8, s8
	v_mul_lo_u32 v8, v7, s16
	v_mad_u64_u32 v[5:6], null, v7, s8, 0
	s_delay_alu instid0(VALU_DEP_1) | instskip(NEXT) | instid1(VALU_DEP_2)
	v_add3_u32 v3, v6, v8, v3
	v_sub_co_u32 v8, vcc_lo, v2, v5
	s_delay_alu instid0(VALU_DEP_2) | instskip(NEXT) | instid1(VALU_DEP_2)
	v_sub_co_ci_u32_e32 v3, vcc_lo, v10, v3, vcc_lo
	v_mul_lo_u32 v9, v8, s25
	v_mad_u64_u32 v[5:6], null, v8, s17, 0
	s_delay_alu instid0(VALU_DEP_3) | instskip(SKIP_1) | instid1(VALU_DEP_2)
	v_mul_lo_u32 v3, v3, s17
	v_mov_b32_e32 v8, v4
	v_add3_u32 v6, v6, v9, v3
	s_delay_alu instid0(VALU_DEP_1) | instskip(NEXT) | instid1(VALU_DEP_1)
	v_or_b32_e32 v9, s16, v6
	v_cmp_ne_u64_e32 vcc_lo, 0, v[8:9]
                                        ; implicit-def: $vgpr8_vgpr9
	s_and_saveexec_b32 s2, vcc_lo
	s_delay_alu instid0(SALU_CYCLE_1)
	s_xor_b32 s3, exec_lo, s2
	s_cbranch_execz .LBB1_21
; %bb.20:                               ;   in Loop: Header=BB1_15 Depth=1
	s_add_u32 s6, s8, s16
	s_mov_b32 s4, s16
	s_mov_b32 s5, s16
	s_addc_u32 s7, s16, s16
	s_delay_alu instid0(SALU_CYCLE_1) | instskip(NEXT) | instid1(SALU_CYCLE_1)
	s_xor_b64 s[6:7], s[6:7], s[4:5]
	v_cvt_f32_u32_e32 v3, s6
	v_cvt_f32_u32_e32 v8, s7
	s_sub_u32 s2, 0, s6
	s_subb_u32 s5, 0, s7
	s_delay_alu instid0(VALU_DEP_1) | instskip(NEXT) | instid1(VALU_DEP_1)
	v_fmac_f32_e32 v3, 0x4f800000, v8
	v_rcp_f32_e32 v3, v3
	s_waitcnt_depctr 0xfff
	v_mul_f32_e32 v3, 0x5f7ffffc, v3
	s_delay_alu instid0(VALU_DEP_1) | instskip(NEXT) | instid1(VALU_DEP_1)
	v_mul_f32_e32 v8, 0x2f800000, v3
	v_trunc_f32_e32 v8, v8
	s_delay_alu instid0(VALU_DEP_1) | instskip(SKIP_1) | instid1(VALU_DEP_2)
	v_fmac_f32_e32 v3, 0xcf800000, v8
	v_cvt_u32_f32_e32 v8, v8
	v_cvt_u32_f32_e32 v3, v3
	s_delay_alu instid0(VALU_DEP_2) | instskip(NEXT) | instid1(VALU_DEP_2)
	v_mul_lo_u32 v9, s2, v8
	v_mul_hi_u32 v11, s2, v3
	v_mul_lo_u32 v16, s5, v3
	s_delay_alu instid0(VALU_DEP_2) | instskip(SKIP_1) | instid1(VALU_DEP_2)
	v_add_nc_u32_e32 v9, v11, v9
	v_mul_lo_u32 v11, s2, v3
	v_add_nc_u32_e32 v9, v9, v16
	s_delay_alu instid0(VALU_DEP_2) | instskip(NEXT) | instid1(VALU_DEP_2)
	v_mul_hi_u32 v16, v3, v11
	v_mul_lo_u32 v17, v3, v9
	v_mul_hi_u32 v18, v3, v9
	v_mul_hi_u32 v19, v8, v11
	v_mul_lo_u32 v11, v8, v11
	v_mul_hi_u32 v20, v8, v9
	v_mul_lo_u32 v9, v8, v9
	v_add_co_u32 v16, vcc_lo, v16, v17
	v_add_co_ci_u32_e32 v17, vcc_lo, 0, v18, vcc_lo
	s_delay_alu instid0(VALU_DEP_2) | instskip(NEXT) | instid1(VALU_DEP_2)
	v_add_co_u32 v11, vcc_lo, v16, v11
	v_add_co_ci_u32_e32 v11, vcc_lo, v17, v19, vcc_lo
	v_add_co_ci_u32_e32 v16, vcc_lo, 0, v20, vcc_lo
	v_ashrrev_i32_e32 v19, 31, v6
	s_delay_alu instid0(VALU_DEP_3) | instskip(NEXT) | instid1(VALU_DEP_3)
	v_add_co_u32 v9, vcc_lo, v11, v9
	v_add_co_ci_u32_e32 v11, vcc_lo, 0, v16, vcc_lo
	s_delay_alu instid0(VALU_DEP_2) | instskip(NEXT) | instid1(VALU_DEP_2)
	v_add_co_u32 v3, vcc_lo, v3, v9
	v_add_co_ci_u32_e32 v8, vcc_lo, v8, v11, vcc_lo
	s_delay_alu instid0(VALU_DEP_2) | instskip(SKIP_1) | instid1(VALU_DEP_3)
	v_mul_hi_u32 v9, s2, v3
	v_mul_lo_u32 v16, s5, v3
	v_mul_lo_u32 v11, s2, v8
	s_delay_alu instid0(VALU_DEP_1) | instskip(SKIP_1) | instid1(VALU_DEP_2)
	v_add_nc_u32_e32 v9, v9, v11
	v_mul_lo_u32 v11, s2, v3
	v_add_nc_u32_e32 v9, v9, v16
	s_delay_alu instid0(VALU_DEP_2) | instskip(NEXT) | instid1(VALU_DEP_2)
	v_mul_hi_u32 v16, v3, v11
	v_mul_lo_u32 v17, v3, v9
	v_mul_hi_u32 v18, v3, v9
	v_mul_hi_u32 v20, v8, v11
	v_mul_lo_u32 v11, v8, v11
	v_mul_hi_u32 v21, v8, v9
	v_mul_lo_u32 v9, v8, v9
	v_add_co_u32 v16, vcc_lo, v16, v17
	v_add_co_ci_u32_e32 v17, vcc_lo, 0, v18, vcc_lo
	s_delay_alu instid0(VALU_DEP_2) | instskip(NEXT) | instid1(VALU_DEP_2)
	v_add_co_u32 v11, vcc_lo, v16, v11
	v_add_co_ci_u32_e32 v11, vcc_lo, v17, v20, vcc_lo
	v_add_co_ci_u32_e32 v16, vcc_lo, 0, v21, vcc_lo
	v_add_co_u32 v5, vcc_lo, v5, v19
	v_add_co_ci_u32_e32 v6, vcc_lo, v6, v19, vcc_lo
	s_delay_alu instid0(VALU_DEP_4) | instskip(NEXT) | instid1(VALU_DEP_4)
	v_add_co_u32 v9, vcc_lo, v11, v9
	v_add_co_ci_u32_e32 v11, vcc_lo, 0, v16, vcc_lo
	s_delay_alu instid0(VALU_DEP_4) | instskip(NEXT) | instid1(VALU_DEP_3)
	v_xor_b32_e32 v18, v5, v19
	v_add_co_u32 v3, vcc_lo, v3, v9
	s_delay_alu instid0(VALU_DEP_3) | instskip(SKIP_1) | instid1(VALU_DEP_3)
	v_add_co_ci_u32_e32 v11, vcc_lo, v8, v11, vcc_lo
	v_xor_b32_e32 v20, v6, v19
	v_mul_hi_u32 v21, v18, v3
	s_delay_alu instid0(VALU_DEP_3) | instskip(NEXT) | instid1(VALU_DEP_3)
	v_mad_u64_u32 v[5:6], null, v18, v11, 0
	v_mad_u64_u32 v[8:9], null, v20, v3, 0
	;; [unrolled: 1-line block ×3, first 2 shown]
	s_delay_alu instid0(VALU_DEP_3) | instskip(NEXT) | instid1(VALU_DEP_4)
	v_add_co_u32 v3, vcc_lo, v21, v5
	v_add_co_ci_u32_e32 v5, vcc_lo, 0, v6, vcc_lo
	s_delay_alu instid0(VALU_DEP_2) | instskip(NEXT) | instid1(VALU_DEP_2)
	v_add_co_u32 v3, vcc_lo, v3, v8
	v_add_co_ci_u32_e32 v3, vcc_lo, v5, v9, vcc_lo
	v_add_co_ci_u32_e32 v5, vcc_lo, 0, v17, vcc_lo
	s_delay_alu instid0(VALU_DEP_2) | instskip(NEXT) | instid1(VALU_DEP_2)
	v_add_co_u32 v3, vcc_lo, v3, v16
	v_add_co_ci_u32_e32 v8, vcc_lo, 0, v5, vcc_lo
	s_delay_alu instid0(VALU_DEP_2) | instskip(SKIP_1) | instid1(VALU_DEP_3)
	v_mul_lo_u32 v9, s7, v3
	v_mad_u64_u32 v[5:6], null, s6, v3, 0
	v_mul_lo_u32 v8, s6, v8
	s_delay_alu instid0(VALU_DEP_2) | instskip(NEXT) | instid1(VALU_DEP_2)
	v_sub_co_u32 v5, vcc_lo, v18, v5
	v_add3_u32 v6, v6, v8, v9
	v_add_co_u32 v9, s2, v3, 2
	s_delay_alu instid0(VALU_DEP_2) | instskip(NEXT) | instid1(VALU_DEP_1)
	v_sub_nc_u32_e32 v8, v20, v6
	v_subrev_co_ci_u32_e64 v8, s2, s7, v8, vcc_lo
	v_sub_co_u32 v11, s2, v5, s6
	v_sub_co_ci_u32_e32 v6, vcc_lo, v20, v6, vcc_lo
	s_delay_alu instid0(VALU_DEP_3) | instskip(NEXT) | instid1(VALU_DEP_3)
	v_subrev_co_ci_u32_e64 v8, s2, 0, v8, s2
	v_cmp_le_u32_e32 vcc_lo, s6, v11
	v_cndmask_b32_e64 v11, 0, -1, vcc_lo
	s_delay_alu instid0(VALU_DEP_3)
	v_cmp_le_u32_e32 vcc_lo, s7, v8
	v_cndmask_b32_e64 v16, 0, -1, vcc_lo
	v_cmp_le_u32_e32 vcc_lo, s6, v5
	v_cndmask_b32_e64 v5, 0, -1, vcc_lo
	;; [unrolled: 2-line block ×3, first 2 shown]
	v_cmp_eq_u32_e32 vcc_lo, s7, v8
	v_cndmask_b32_e32 v8, v16, v11, vcc_lo
	v_add_co_u32 v11, vcc_lo, v3, 1
	v_cmp_eq_u32_e32 vcc_lo, s7, v6
	v_cndmask_b32_e32 v5, v17, v5, vcc_lo
	s_delay_alu instid0(VALU_DEP_4) | instskip(NEXT) | instid1(VALU_DEP_4)
	v_cmp_ne_u32_e32 vcc_lo, 0, v8
	v_cndmask_b32_e32 v6, v11, v9, vcc_lo
	s_delay_alu instid0(VALU_DEP_3) | instskip(SKIP_1) | instid1(VALU_DEP_3)
	v_cmp_ne_u32_e32 vcc_lo, 0, v5
	v_xor_b32_e32 v5, s4, v19
	v_cndmask_b32_e32 v3, v3, v6, vcc_lo
	s_delay_alu instid0(VALU_DEP_1) | instskip(NEXT) | instid1(VALU_DEP_1)
	v_xor_b32_e32 v3, v3, v5
	v_sub_co_u32 v8, vcc_lo, v3, v5
                                        ; implicit-def: $vgpr5_vgpr6
.LBB1_21:                               ;   in Loop: Header=BB1_15 Depth=1
	s_and_not1_saveexec_b32 s2, s3
; %bb.22:                               ;   in Loop: Header=BB1_15 Depth=1
	v_mul_hi_u32 v3, v5, v15
	s_delay_alu instid0(VALU_DEP_1) | instskip(NEXT) | instid1(VALU_DEP_1)
	v_mul_lo_u32 v6, v3, s8
	v_sub_nc_u32_e32 v5, v5, v6
	s_delay_alu instid0(VALU_DEP_1) | instskip(SKIP_1) | instid1(VALU_DEP_2)
	v_subrev_nc_u32_e32 v8, s8, v5
	v_cmp_le_u32_e32 vcc_lo, s8, v5
	v_dual_cndmask_b32 v5, v5, v8 :: v_dual_add_nc_u32 v6, 1, v3
	s_delay_alu instid0(VALU_DEP_1) | instskip(NEXT) | instid1(VALU_DEP_2)
	v_cndmask_b32_e32 v3, v3, v6, vcc_lo
	v_cmp_le_u32_e32 vcc_lo, s8, v5
	s_delay_alu instid0(VALU_DEP_2) | instskip(NEXT) | instid1(VALU_DEP_1)
	v_add_nc_u32_e32 v6, 1, v3
	v_cndmask_b32_e32 v8, v3, v6, vcc_lo
; %bb.23:                               ;   in Loop: Header=BB1_15 Depth=1
	s_or_b32 exec_lo, exec_lo, s2
	v_add_co_u32 v3, vcc_lo, v2, 1
	v_add_co_ci_u32_e32 v5, vcc_lo, 0, v10, vcc_lo
	s_delay_alu instid0(VALU_DEP_2) | instskip(NEXT) | instid1(VALU_DEP_2)
	v_mul_lo_u32 v9, v3, s25
	v_mul_lo_u32 v10, v5, s17
	v_mad_u64_u32 v[5:6], null, v3, s17, -1
	s_delay_alu instid0(VALU_DEP_1) | instskip(SKIP_1) | instid1(VALU_DEP_2)
	v_add3_u32 v6, v10, v6, v9
	v_mov_b32_e32 v9, v4
	v_or_b32_e32 v10, s16, v6
	s_delay_alu instid0(VALU_DEP_1) | instskip(SKIP_1) | instid1(SALU_CYCLE_1)
	v_cmp_ne_u64_e32 vcc_lo, 0, v[9:10]
                                        ; implicit-def: $vgpr9_vgpr10
	s_and_saveexec_b32 s2, vcc_lo
	s_xor_b32 s3, exec_lo, s2
	s_cbranch_execnz .LBB1_26
; %bb.24:                               ;   in Loop: Header=BB1_15 Depth=1
	s_and_not1_saveexec_b32 s2, s3
	s_cbranch_execnz .LBB1_27
.LBB1_25:                               ;   in Loop: Header=BB1_15 Depth=1
	s_or_b32 exec_lo, exec_lo, s2
	s_and_saveexec_b32 s34, s0
	s_cbranch_execz .LBB1_14
	s_branch .LBB1_28
.LBB1_26:                               ;   in Loop: Header=BB1_15 Depth=1
	s_add_u32 s6, s8, s16
	s_mov_b32 s4, s16
	s_mov_b32 s5, s16
	s_addc_u32 s7, s16, s16
	s_delay_alu instid0(SALU_CYCLE_1) | instskip(NEXT) | instid1(SALU_CYCLE_1)
	s_xor_b64 s[6:7], s[6:7], s[4:5]
	v_cvt_f32_u32_e32 v3, s6
	v_cvt_f32_u32_e32 v9, s7
	s_sub_u32 s2, 0, s6
	s_subb_u32 s5, 0, s7
	s_delay_alu instid0(VALU_DEP_1) | instskip(NEXT) | instid1(VALU_DEP_1)
	v_fmac_f32_e32 v3, 0x4f800000, v9
	v_rcp_f32_e32 v3, v3
	s_waitcnt_depctr 0xfff
	v_mul_f32_e32 v3, 0x5f7ffffc, v3
	s_delay_alu instid0(VALU_DEP_1) | instskip(NEXT) | instid1(VALU_DEP_1)
	v_mul_f32_e32 v9, 0x2f800000, v3
	v_trunc_f32_e32 v9, v9
	s_delay_alu instid0(VALU_DEP_1) | instskip(SKIP_1) | instid1(VALU_DEP_2)
	v_fmac_f32_e32 v3, 0xcf800000, v9
	v_cvt_u32_f32_e32 v9, v9
	v_cvt_u32_f32_e32 v3, v3
	s_delay_alu instid0(VALU_DEP_2) | instskip(NEXT) | instid1(VALU_DEP_2)
	v_mul_lo_u32 v10, s2, v9
	v_mul_hi_u32 v11, s2, v3
	v_mul_lo_u32 v16, s5, v3
	s_delay_alu instid0(VALU_DEP_2) | instskip(SKIP_1) | instid1(VALU_DEP_2)
	v_add_nc_u32_e32 v10, v11, v10
	v_mul_lo_u32 v11, s2, v3
	v_add_nc_u32_e32 v10, v10, v16
	s_delay_alu instid0(VALU_DEP_2) | instskip(NEXT) | instid1(VALU_DEP_2)
	v_mul_hi_u32 v16, v3, v11
	v_mul_lo_u32 v17, v3, v10
	v_mul_hi_u32 v18, v3, v10
	v_mul_hi_u32 v19, v9, v11
	v_mul_lo_u32 v11, v9, v11
	v_mul_hi_u32 v20, v9, v10
	v_mul_lo_u32 v10, v9, v10
	v_add_co_u32 v16, vcc_lo, v16, v17
	v_add_co_ci_u32_e32 v17, vcc_lo, 0, v18, vcc_lo
	s_delay_alu instid0(VALU_DEP_2) | instskip(NEXT) | instid1(VALU_DEP_2)
	v_add_co_u32 v11, vcc_lo, v16, v11
	v_add_co_ci_u32_e32 v11, vcc_lo, v17, v19, vcc_lo
	v_add_co_ci_u32_e32 v16, vcc_lo, 0, v20, vcc_lo
	v_ashrrev_i32_e32 v19, 31, v6
	s_delay_alu instid0(VALU_DEP_3) | instskip(NEXT) | instid1(VALU_DEP_3)
	v_add_co_u32 v10, vcc_lo, v11, v10
	v_add_co_ci_u32_e32 v11, vcc_lo, 0, v16, vcc_lo
	s_delay_alu instid0(VALU_DEP_2) | instskip(NEXT) | instid1(VALU_DEP_2)
	v_add_co_u32 v3, vcc_lo, v3, v10
	v_add_co_ci_u32_e32 v9, vcc_lo, v9, v11, vcc_lo
	s_delay_alu instid0(VALU_DEP_2) | instskip(SKIP_1) | instid1(VALU_DEP_3)
	v_mul_hi_u32 v10, s2, v3
	v_mul_lo_u32 v16, s5, v3
	v_mul_lo_u32 v11, s2, v9
	s_delay_alu instid0(VALU_DEP_1) | instskip(SKIP_1) | instid1(VALU_DEP_2)
	v_add_nc_u32_e32 v10, v10, v11
	v_mul_lo_u32 v11, s2, v3
	v_add_nc_u32_e32 v10, v10, v16
	s_delay_alu instid0(VALU_DEP_2) | instskip(NEXT) | instid1(VALU_DEP_2)
	v_mul_hi_u32 v16, v3, v11
	v_mul_lo_u32 v17, v3, v10
	v_mul_hi_u32 v18, v3, v10
	v_mul_hi_u32 v20, v9, v11
	v_mul_lo_u32 v11, v9, v11
	v_mul_hi_u32 v21, v9, v10
	v_mul_lo_u32 v10, v9, v10
	v_add_co_u32 v16, vcc_lo, v16, v17
	v_add_co_ci_u32_e32 v17, vcc_lo, 0, v18, vcc_lo
	s_delay_alu instid0(VALU_DEP_2) | instskip(NEXT) | instid1(VALU_DEP_2)
	v_add_co_u32 v11, vcc_lo, v16, v11
	v_add_co_ci_u32_e32 v11, vcc_lo, v17, v20, vcc_lo
	v_add_co_ci_u32_e32 v16, vcc_lo, 0, v21, vcc_lo
	v_add_co_u32 v5, vcc_lo, v5, v19
	v_add_co_ci_u32_e32 v6, vcc_lo, v6, v19, vcc_lo
	s_delay_alu instid0(VALU_DEP_4) | instskip(NEXT) | instid1(VALU_DEP_4)
	v_add_co_u32 v10, vcc_lo, v11, v10
	v_add_co_ci_u32_e32 v11, vcc_lo, 0, v16, vcc_lo
	s_delay_alu instid0(VALU_DEP_4) | instskip(NEXT) | instid1(VALU_DEP_3)
	v_xor_b32_e32 v18, v5, v19
	v_add_co_u32 v3, vcc_lo, v3, v10
	s_delay_alu instid0(VALU_DEP_3) | instskip(SKIP_1) | instid1(VALU_DEP_3)
	v_add_co_ci_u32_e32 v11, vcc_lo, v9, v11, vcc_lo
	v_xor_b32_e32 v20, v6, v19
	v_mul_hi_u32 v21, v18, v3
	s_delay_alu instid0(VALU_DEP_3) | instskip(NEXT) | instid1(VALU_DEP_3)
	v_mad_u64_u32 v[5:6], null, v18, v11, 0
	v_mad_u64_u32 v[9:10], null, v20, v3, 0
	;; [unrolled: 1-line block ×3, first 2 shown]
	s_delay_alu instid0(VALU_DEP_3) | instskip(NEXT) | instid1(VALU_DEP_4)
	v_add_co_u32 v3, vcc_lo, v21, v5
	v_add_co_ci_u32_e32 v5, vcc_lo, 0, v6, vcc_lo
	s_delay_alu instid0(VALU_DEP_2) | instskip(NEXT) | instid1(VALU_DEP_2)
	v_add_co_u32 v3, vcc_lo, v3, v9
	v_add_co_ci_u32_e32 v3, vcc_lo, v5, v10, vcc_lo
	v_add_co_ci_u32_e32 v5, vcc_lo, 0, v17, vcc_lo
	s_delay_alu instid0(VALU_DEP_2) | instskip(NEXT) | instid1(VALU_DEP_2)
	v_add_co_u32 v3, vcc_lo, v3, v16
	v_add_co_ci_u32_e32 v9, vcc_lo, 0, v5, vcc_lo
	s_delay_alu instid0(VALU_DEP_2) | instskip(SKIP_1) | instid1(VALU_DEP_3)
	v_mul_lo_u32 v10, s7, v3
	v_mad_u64_u32 v[5:6], null, s6, v3, 0
	v_mul_lo_u32 v9, s6, v9
	s_delay_alu instid0(VALU_DEP_2) | instskip(NEXT) | instid1(VALU_DEP_2)
	v_sub_co_u32 v5, vcc_lo, v18, v5
	v_add3_u32 v6, v6, v9, v10
	v_add_co_u32 v10, s2, v3, 2
	s_delay_alu instid0(VALU_DEP_2) | instskip(NEXT) | instid1(VALU_DEP_1)
	v_sub_nc_u32_e32 v9, v20, v6
	v_subrev_co_ci_u32_e64 v9, s2, s7, v9, vcc_lo
	v_sub_co_u32 v11, s2, v5, s6
	v_sub_co_ci_u32_e32 v6, vcc_lo, v20, v6, vcc_lo
	s_delay_alu instid0(VALU_DEP_3) | instskip(NEXT) | instid1(VALU_DEP_3)
	v_subrev_co_ci_u32_e64 v9, s2, 0, v9, s2
	v_cmp_le_u32_e32 vcc_lo, s6, v11
	v_cndmask_b32_e64 v11, 0, -1, vcc_lo
	s_delay_alu instid0(VALU_DEP_3)
	v_cmp_le_u32_e32 vcc_lo, s7, v9
	v_cndmask_b32_e64 v16, 0, -1, vcc_lo
	v_cmp_le_u32_e32 vcc_lo, s6, v5
	v_cndmask_b32_e64 v5, 0, -1, vcc_lo
	;; [unrolled: 2-line block ×3, first 2 shown]
	v_cmp_eq_u32_e32 vcc_lo, s7, v9
	v_cndmask_b32_e32 v9, v16, v11, vcc_lo
	v_add_co_u32 v11, vcc_lo, v3, 1
	v_cmp_eq_u32_e32 vcc_lo, s7, v6
	v_cndmask_b32_e32 v5, v17, v5, vcc_lo
	s_delay_alu instid0(VALU_DEP_4) | instskip(NEXT) | instid1(VALU_DEP_4)
	v_cmp_ne_u32_e32 vcc_lo, 0, v9
	v_cndmask_b32_e32 v6, v11, v10, vcc_lo
	s_delay_alu instid0(VALU_DEP_3) | instskip(SKIP_1) | instid1(VALU_DEP_3)
	v_cmp_ne_u32_e32 vcc_lo, 0, v5
	v_xor_b32_e32 v5, s4, v19
	v_cndmask_b32_e32 v3, v3, v6, vcc_lo
	s_delay_alu instid0(VALU_DEP_1) | instskip(NEXT) | instid1(VALU_DEP_1)
	v_xor_b32_e32 v3, v3, v5
	v_sub_co_u32 v9, vcc_lo, v3, v5
                                        ; implicit-def: $vgpr5_vgpr6
	s_and_not1_saveexec_b32 s2, s3
	s_cbranch_execz .LBB1_25
.LBB1_27:                               ;   in Loop: Header=BB1_15 Depth=1
	v_mul_hi_u32 v3, v5, v15
	s_delay_alu instid0(VALU_DEP_1) | instskip(NEXT) | instid1(VALU_DEP_1)
	v_mul_lo_u32 v6, v3, s8
	v_sub_nc_u32_e32 v5, v5, v6
	s_delay_alu instid0(VALU_DEP_1) | instskip(SKIP_1) | instid1(VALU_DEP_2)
	v_subrev_nc_u32_e32 v9, s8, v5
	v_cmp_le_u32_e32 vcc_lo, s8, v5
	v_dual_cndmask_b32 v5, v5, v9 :: v_dual_add_nc_u32 v6, 1, v3
	s_delay_alu instid0(VALU_DEP_1) | instskip(NEXT) | instid1(VALU_DEP_2)
	v_cndmask_b32_e32 v3, v3, v6, vcc_lo
	v_cmp_le_u32_e32 vcc_lo, s8, v5
	s_delay_alu instid0(VALU_DEP_2) | instskip(NEXT) | instid1(VALU_DEP_1)
	v_add_nc_u32_e32 v6, 1, v3
	v_cndmask_b32_e32 v9, v3, v6, vcc_lo
	s_or_b32 exec_lo, exec_lo, s2
	s_and_saveexec_b32 s34, s0
	s_cbranch_execz .LBB1_14
.LBB1_28:                               ;   in Loop: Header=BB1_15 Depth=1
	s_delay_alu instid0(VALU_DEP_1) | instskip(SKIP_2) | instid1(VALU_DEP_2)
	v_mad_u64_u32 v[5:6], null, v7, s17, v[8:9]
	v_mul_lo_u32 v6, v2, s21
	s_mov_b32 s35, 0
	v_sub_nc_u32_e32 v3, v9, v5
	s_delay_alu instid0(VALU_DEP_2) | instskip(NEXT) | instid1(VALU_DEP_2)
	v_ashrrev_i32_e32 v7, 31, v6
	v_dual_mov_b32 v3, v0 :: v_dual_add_nc_u32 v16, 1, v3
	s_delay_alu instid0(VALU_DEP_2) | instskip(NEXT) | instid1(VALU_DEP_2)
	v_lshlrev_b64 v[6:7], 2, v[6:7]
	v_mul_lo_u32 v17, v16, v12
	v_cmp_lt_i32_e64 s2, 0, v16
	s_delay_alu instid0(VALU_DEP_3) | instskip(NEXT) | instid1(VALU_DEP_4)
	v_add_co_u32 v18, vcc_lo, s22, v6
	v_add_co_ci_u32_e32 v19, vcc_lo, s23, v7, vcc_lo
	s_branch .LBB1_30
.LBB1_29:                               ;   in Loop: Header=BB1_30 Depth=2
	s_delay_alu instid0(VALU_DEP_1) | instskip(NEXT) | instid1(VALU_DEP_1)
	v_mul_lo_u32 v7, v17, v7
	v_cvt_f32_i32_e32 v9, v7
	s_delay_alu instid0(VALU_DEP_1) | instskip(SKIP_1) | instid1(VALU_DEP_2)
	v_div_scale_f32 v10, null, v9, v9, v6
	v_div_scale_f32 v20, vcc_lo, v6, v9, v6
	v_rcp_f32_e32 v11, v10
	s_waitcnt_depctr 0xfff
	v_fma_f32 v7, -v10, v11, 1.0
	s_delay_alu instid0(VALU_DEP_1) | instskip(NEXT) | instid1(VALU_DEP_1)
	v_fmac_f32_e32 v11, v7, v11
	v_mul_f32_e32 v21, v20, v11
	s_delay_alu instid0(VALU_DEP_1) | instskip(NEXT) | instid1(VALU_DEP_1)
	v_fma_f32 v7, -v10, v21, v20
	v_fmac_f32_e32 v21, v7, v11
	v_lshlrev_b64 v[7:8], 2, v[3:4]
	v_add_nc_u32_e32 v3, s24, v3
	s_delay_alu instid0(VALU_DEP_3) | instskip(NEXT) | instid1(VALU_DEP_3)
	v_fma_f32 v10, -v10, v21, v20
	v_add_co_u32 v7, s3, v18, v7
	s_delay_alu instid0(VALU_DEP_1) | instskip(NEXT) | instid1(VALU_DEP_3)
	v_add_co_ci_u32_e64 v8, s3, v19, v8, s3
	v_div_fmas_f32 v10, v10, v11, v21
	v_cmp_le_i32_e32 vcc_lo, s21, v3
	s_delay_alu instid0(VALU_DEP_2)
	v_div_fixup_f32 v6, v10, v9, v6
	s_or_b32 s35, vcc_lo, s35
	global_store_b32 v[7:8], v6, off
	s_and_not1_b32 exec_lo, exec_lo, s35
	s_cbranch_execz .LBB1_14
.LBB1_30:                               ;   Parent Loop BB1_15 Depth=1
                                        ; =>  This Loop Header: Depth=2
                                        ;       Child Loop BB1_46 Depth 3
                                        ;         Child Loop BB1_49 Depth 4
                                        ;           Child Loop BB1_51 Depth 5
	v_or_b32_e64 v7, 0, s19
	v_mov_b32_e32 v6, v4
	s_delay_alu instid0(VALU_DEP_1) | instskip(SKIP_1) | instid1(SALU_CYCLE_1)
	v_cmp_ne_u64_e32 vcc_lo, 0, v[6:7]
                                        ; implicit-def: $vgpr6_vgpr7
	s_and_saveexec_b32 s3, vcc_lo
	s_xor_b32 s36, exec_lo, s3
	s_cbranch_execz .LBB1_32
; %bb.31:                               ;   in Loop: Header=BB1_30 Depth=2
	s_add_u32 s6, s30, s19
	s_mov_b32 s4, s19
	s_mov_b32 s5, s19
	s_addc_u32 s7, s19, s19
	s_delay_alu instid0(SALU_CYCLE_1) | instskip(NEXT) | instid1(SALU_CYCLE_1)
	s_xor_b64 s[6:7], s[6:7], s[4:5]
	v_cvt_f32_u32_e32 v6, s6
	v_cvt_f32_u32_e32 v7, s7
	s_sub_u32 s3, 0, s6
	s_subb_u32 s37, 0, s7
	s_delay_alu instid0(VALU_DEP_1) | instskip(NEXT) | instid1(VALU_DEP_1)
	v_fmac_f32_e32 v6, 0x4f800000, v7
	v_rcp_f32_e32 v6, v6
	s_waitcnt_depctr 0xfff
	v_mul_f32_e32 v6, 0x5f7ffffc, v6
	s_delay_alu instid0(VALU_DEP_1) | instskip(NEXT) | instid1(VALU_DEP_1)
	v_mul_f32_e32 v7, 0x2f800000, v6
	v_trunc_f32_e32 v7, v7
	s_delay_alu instid0(VALU_DEP_1) | instskip(SKIP_1) | instid1(VALU_DEP_2)
	v_fmac_f32_e32 v6, 0xcf800000, v7
	v_cvt_u32_f32_e32 v7, v7
	v_cvt_u32_f32_e32 v6, v6
	s_delay_alu instid0(VALU_DEP_2) | instskip(NEXT) | instid1(VALU_DEP_2)
	v_mul_lo_u32 v8, s3, v7
	v_mul_hi_u32 v9, s3, v6
	v_mul_lo_u32 v10, s37, v6
	s_delay_alu instid0(VALU_DEP_2) | instskip(SKIP_1) | instid1(VALU_DEP_2)
	v_add_nc_u32_e32 v8, v9, v8
	v_mul_lo_u32 v9, s3, v6
	v_add_nc_u32_e32 v8, v8, v10
	s_delay_alu instid0(VALU_DEP_2) | instskip(NEXT) | instid1(VALU_DEP_2)
	v_mul_hi_u32 v10, v6, v9
	v_mul_lo_u32 v11, v6, v8
	v_mul_hi_u32 v20, v6, v8
	v_mul_hi_u32 v21, v7, v9
	v_mul_lo_u32 v9, v7, v9
	v_mul_hi_u32 v22, v7, v8
	v_mul_lo_u32 v8, v7, v8
	v_add_co_u32 v10, vcc_lo, v10, v11
	v_add_co_ci_u32_e32 v11, vcc_lo, 0, v20, vcc_lo
	s_delay_alu instid0(VALU_DEP_2) | instskip(NEXT) | instid1(VALU_DEP_2)
	v_add_co_u32 v9, vcc_lo, v10, v9
	v_add_co_ci_u32_e32 v9, vcc_lo, v11, v21, vcc_lo
	v_add_co_ci_u32_e32 v10, vcc_lo, 0, v22, vcc_lo
	v_ashrrev_i32_e64 v21, 31, 0
	s_delay_alu instid0(VALU_DEP_3) | instskip(NEXT) | instid1(VALU_DEP_3)
	v_add_co_u32 v8, vcc_lo, v9, v8
	v_add_co_ci_u32_e32 v9, vcc_lo, 0, v10, vcc_lo
	s_delay_alu instid0(VALU_DEP_2) | instskip(NEXT) | instid1(VALU_DEP_2)
	v_add_co_u32 v6, vcc_lo, v6, v8
	v_add_co_ci_u32_e32 v7, vcc_lo, v7, v9, vcc_lo
	s_delay_alu instid0(VALU_DEP_2) | instskip(SKIP_1) | instid1(VALU_DEP_3)
	v_mul_hi_u32 v8, s3, v6
	v_mul_lo_u32 v10, s37, v6
	v_mul_lo_u32 v9, s3, v7
	s_delay_alu instid0(VALU_DEP_1) | instskip(SKIP_1) | instid1(VALU_DEP_2)
	v_add_nc_u32_e32 v8, v8, v9
	v_mul_lo_u32 v9, s3, v6
	v_add_nc_u32_e32 v8, v8, v10
	s_delay_alu instid0(VALU_DEP_2) | instskip(NEXT) | instid1(VALU_DEP_2)
	v_mul_hi_u32 v10, v6, v9
	v_mul_lo_u32 v11, v6, v8
	v_mul_hi_u32 v20, v6, v8
	v_mul_hi_u32 v22, v7, v9
	v_mul_lo_u32 v9, v7, v9
	v_mul_hi_u32 v23, v7, v8
	v_mul_lo_u32 v8, v7, v8
	v_add_co_u32 v10, vcc_lo, v10, v11
	v_add_co_ci_u32_e32 v11, vcc_lo, 0, v20, vcc_lo
	s_delay_alu instid0(VALU_DEP_2) | instskip(NEXT) | instid1(VALU_DEP_2)
	v_add_co_u32 v9, vcc_lo, v10, v9
	v_add_co_ci_u32_e32 v9, vcc_lo, v11, v22, vcc_lo
	v_add_co_ci_u32_e32 v10, vcc_lo, 0, v23, vcc_lo
	v_add_co_u32 v11, vcc_lo, v3, v21
	v_add_co_ci_u32_e32 v20, vcc_lo, 0, v21, vcc_lo
	s_delay_alu instid0(VALU_DEP_4) | instskip(NEXT) | instid1(VALU_DEP_4)
	v_add_co_u32 v8, vcc_lo, v9, v8
	v_add_co_ci_u32_e32 v9, vcc_lo, 0, v10, vcc_lo
	s_delay_alu instid0(VALU_DEP_4) | instskip(NEXT) | instid1(VALU_DEP_3)
	v_xor_b32_e32 v22, v11, v21
	v_add_co_u32 v10, vcc_lo, v6, v8
	s_delay_alu instid0(VALU_DEP_3) | instskip(SKIP_1) | instid1(VALU_DEP_3)
	v_add_co_ci_u32_e32 v23, vcc_lo, v7, v9, vcc_lo
	v_xor_b32_e32 v20, v20, v21
	v_mul_hi_u32 v24, v22, v10
	s_delay_alu instid0(VALU_DEP_3) | instskip(NEXT) | instid1(VALU_DEP_3)
	v_mad_u64_u32 v[6:7], null, v22, v23, 0
	v_mad_u64_u32 v[8:9], null, v20, v10, 0
	;; [unrolled: 1-line block ×3, first 2 shown]
	s_delay_alu instid0(VALU_DEP_3) | instskip(NEXT) | instid1(VALU_DEP_4)
	v_add_co_u32 v6, vcc_lo, v24, v6
	v_add_co_ci_u32_e32 v7, vcc_lo, 0, v7, vcc_lo
	s_delay_alu instid0(VALU_DEP_2) | instskip(NEXT) | instid1(VALU_DEP_2)
	v_add_co_u32 v6, vcc_lo, v6, v8
	v_add_co_ci_u32_e32 v6, vcc_lo, v7, v9, vcc_lo
	v_add_co_ci_u32_e32 v7, vcc_lo, 0, v11, vcc_lo
	s_delay_alu instid0(VALU_DEP_2) | instskip(NEXT) | instid1(VALU_DEP_2)
	v_add_co_u32 v8, vcc_lo, v6, v10
	v_add_co_ci_u32_e32 v9, vcc_lo, 0, v7, vcc_lo
	s_delay_alu instid0(VALU_DEP_2) | instskip(SKIP_1) | instid1(VALU_DEP_3)
	v_mul_lo_u32 v10, s7, v8
	v_mad_u64_u32 v[6:7], null, s6, v8, 0
	v_mul_lo_u32 v11, s6, v9
	s_delay_alu instid0(VALU_DEP_2) | instskip(NEXT) | instid1(VALU_DEP_2)
	v_sub_co_u32 v6, vcc_lo, v22, v6
	v_add3_u32 v7, v7, v11, v10
	s_delay_alu instid0(VALU_DEP_1) | instskip(NEXT) | instid1(VALU_DEP_1)
	v_sub_nc_u32_e32 v10, v20, v7
	v_subrev_co_ci_u32_e64 v10, s3, s7, v10, vcc_lo
	v_add_co_u32 v11, s3, v8, 2
	s_delay_alu instid0(VALU_DEP_1) | instskip(SKIP_3) | instid1(VALU_DEP_3)
	v_add_co_ci_u32_e64 v22, s3, 0, v9, s3
	v_sub_co_u32 v23, s3, v6, s6
	v_sub_co_ci_u32_e32 v7, vcc_lo, v20, v7, vcc_lo
	v_subrev_co_ci_u32_e64 v10, s3, 0, v10, s3
	v_cmp_le_u32_e32 vcc_lo, s6, v23
	s_delay_alu instid0(VALU_DEP_3) | instskip(SKIP_1) | instid1(VALU_DEP_4)
	v_cmp_eq_u32_e64 s3, s7, v7
	v_cndmask_b32_e64 v20, 0, -1, vcc_lo
	v_cmp_le_u32_e32 vcc_lo, s7, v10
	v_cndmask_b32_e64 v23, 0, -1, vcc_lo
	v_cmp_le_u32_e32 vcc_lo, s6, v6
	;; [unrolled: 2-line block ×3, first 2 shown]
	v_cndmask_b32_e64 v24, 0, -1, vcc_lo
	v_cmp_eq_u32_e32 vcc_lo, s7, v10
	s_delay_alu instid0(VALU_DEP_2) | instskip(SKIP_3) | instid1(VALU_DEP_3)
	v_cndmask_b32_e64 v6, v24, v6, s3
	v_cndmask_b32_e32 v10, v23, v20, vcc_lo
	v_add_co_u32 v20, vcc_lo, v8, 1
	v_add_co_ci_u32_e32 v23, vcc_lo, 0, v9, vcc_lo
	v_cmp_ne_u32_e32 vcc_lo, 0, v10
	s_delay_alu instid0(VALU_DEP_2) | instskip(SKIP_2) | instid1(VALU_DEP_3)
	v_dual_cndmask_b32 v7, v23, v22 :: v_dual_cndmask_b32 v10, v20, v11
	v_cmp_ne_u32_e32 vcc_lo, 0, v6
	v_xor_b32_e32 v6, s4, v21
	v_dual_cndmask_b32 v8, v8, v10 :: v_dual_cndmask_b32 v7, v9, v7
	v_xor_b32_e32 v9, s5, v21
	s_delay_alu instid0(VALU_DEP_2) | instskip(NEXT) | instid1(VALU_DEP_2)
	v_xor_b32_e32 v8, v8, v6
	v_xor_b32_e32 v7, v7, v9
	s_delay_alu instid0(VALU_DEP_2) | instskip(NEXT) | instid1(VALU_DEP_2)
	v_sub_co_u32 v6, vcc_lo, v8, v6
	v_sub_co_ci_u32_e32 v7, vcc_lo, v7, v9, vcc_lo
.LBB1_32:                               ;   in Loop: Header=BB1_30 Depth=2
	s_or_saveexec_b32 s3, s36
	v_cvt_f32_u32_e32 v20, s30
	s_xor_b32 exec_lo, exec_lo, s3
	s_cbranch_execz .LBB1_34
; %bb.33:                               ;   in Loop: Header=BB1_30 Depth=2
	s_delay_alu instid0(VALU_DEP_1) | instskip(SKIP_3) | instid1(VALU_DEP_1)
	v_rcp_iflag_f32_e32 v6, v20
	s_sub_i32 s4, 0, s30
	s_waitcnt_depctr 0xfff
	v_mul_f32_e32 v6, 0x4f7ffffe, v6
	v_cvt_u32_f32_e32 v6, v6
	s_delay_alu instid0(VALU_DEP_1) | instskip(NEXT) | instid1(VALU_DEP_1)
	v_mul_lo_u32 v7, s4, v6
	v_mul_hi_u32 v7, v6, v7
	s_delay_alu instid0(VALU_DEP_1) | instskip(NEXT) | instid1(VALU_DEP_1)
	v_add_nc_u32_e32 v6, v6, v7
	v_mul_hi_u32 v6, v3, v6
	s_delay_alu instid0(VALU_DEP_1) | instskip(SKIP_1) | instid1(VALU_DEP_2)
	v_mul_lo_u32 v7, v6, s30
	v_add_nc_u32_e32 v8, 1, v6
	v_sub_nc_u32_e32 v7, v3, v7
	s_delay_alu instid0(VALU_DEP_1) | instskip(SKIP_1) | instid1(VALU_DEP_2)
	v_subrev_nc_u32_e32 v9, s30, v7
	v_cmp_le_u32_e32 vcc_lo, s30, v7
	v_dual_cndmask_b32 v7, v7, v9 :: v_dual_cndmask_b32 v6, v6, v8
	s_delay_alu instid0(VALU_DEP_1) | instskip(NEXT) | instid1(VALU_DEP_2)
	v_cmp_le_u32_e32 vcc_lo, s30, v7
	v_dual_mov_b32 v7, v4 :: v_dual_add_nc_u32 v8, 1, v6
	s_delay_alu instid0(VALU_DEP_1)
	v_cndmask_b32_e32 v6, v6, v8, vcc_lo
.LBB1_34:                               ;   in Loop: Header=BB1_30 Depth=2
	s_or_b32 exec_lo, exec_lo, s3
	s_delay_alu instid0(VALU_DEP_2) | instskip(NEXT) | instid1(VALU_DEP_2)
	v_mul_lo_u32 v9, v7, s30
	v_mul_lo_u32 v10, v6, s19
	v_mad_u64_u32 v[7:8], null, v6, s30, 0
	s_delay_alu instid0(VALU_DEP_1) | instskip(NEXT) | instid1(VALU_DEP_2)
	v_add3_u32 v8, v8, v10, v9
	v_sub_co_u32 v7, vcc_lo, v3, v7
	s_delay_alu instid0(VALU_DEP_2) | instskip(NEXT) | instid1(VALU_DEP_2)
	v_sub_co_ci_u32_e32 v8, vcc_lo, 0, v8, vcc_lo
	v_mul_lo_u32 v11, v7, s26
	v_mad_u64_u32 v[9:10], null, v7, s18, 0
	s_delay_alu instid0(VALU_DEP_3) | instskip(NEXT) | instid1(VALU_DEP_1)
	v_mul_lo_u32 v7, v8, s18
	v_add3_u32 v10, v10, v11, v7
	v_mov_b32_e32 v7, v4
	s_delay_alu instid0(VALU_DEP_2) | instskip(NEXT) | instid1(VALU_DEP_1)
	v_or_b32_e32 v8, s19, v10
	v_cmp_ne_u64_e32 vcc_lo, 0, v[7:8]
                                        ; implicit-def: $vgpr7_vgpr8
	s_and_saveexec_b32 s3, vcc_lo
	s_delay_alu instid0(SALU_CYCLE_1)
	s_xor_b32 s36, exec_lo, s3
	s_cbranch_execz .LBB1_36
; %bb.35:                               ;   in Loop: Header=BB1_30 Depth=2
	s_add_u32 s6, s30, s19
	s_mov_b32 s4, s19
	s_mov_b32 s5, s19
	s_addc_u32 s7, s19, s19
	s_delay_alu instid0(SALU_CYCLE_1) | instskip(NEXT) | instid1(SALU_CYCLE_1)
	s_xor_b64 s[6:7], s[6:7], s[4:5]
	v_cvt_f32_u32_e32 v7, s6
	v_cvt_f32_u32_e32 v8, s7
	s_sub_u32 s3, 0, s6
	s_subb_u32 s5, 0, s7
	s_delay_alu instid0(VALU_DEP_1) | instskip(NEXT) | instid1(VALU_DEP_1)
	v_fmac_f32_e32 v7, 0x4f800000, v8
	v_rcp_f32_e32 v7, v7
	s_waitcnt_depctr 0xfff
	v_mul_f32_e32 v7, 0x5f7ffffc, v7
	s_delay_alu instid0(VALU_DEP_1) | instskip(NEXT) | instid1(VALU_DEP_1)
	v_mul_f32_e32 v8, 0x2f800000, v7
	v_trunc_f32_e32 v8, v8
	s_delay_alu instid0(VALU_DEP_1) | instskip(SKIP_1) | instid1(VALU_DEP_2)
	v_fmac_f32_e32 v7, 0xcf800000, v8
	v_cvt_u32_f32_e32 v8, v8
	v_cvt_u32_f32_e32 v7, v7
	s_delay_alu instid0(VALU_DEP_2) | instskip(NEXT) | instid1(VALU_DEP_2)
	v_mul_lo_u32 v11, s3, v8
	v_mul_hi_u32 v21, s3, v7
	v_mul_lo_u32 v22, s5, v7
	s_delay_alu instid0(VALU_DEP_2) | instskip(SKIP_1) | instid1(VALU_DEP_2)
	v_add_nc_u32_e32 v11, v21, v11
	v_mul_lo_u32 v21, s3, v7
	v_add_nc_u32_e32 v11, v11, v22
	s_delay_alu instid0(VALU_DEP_2) | instskip(NEXT) | instid1(VALU_DEP_2)
	v_mul_hi_u32 v22, v7, v21
	v_mul_lo_u32 v23, v7, v11
	v_mul_hi_u32 v24, v7, v11
	v_mul_hi_u32 v25, v8, v21
	v_mul_lo_u32 v21, v8, v21
	v_mul_hi_u32 v26, v8, v11
	v_mul_lo_u32 v11, v8, v11
	v_add_co_u32 v22, vcc_lo, v22, v23
	v_add_co_ci_u32_e32 v23, vcc_lo, 0, v24, vcc_lo
	s_delay_alu instid0(VALU_DEP_2) | instskip(NEXT) | instid1(VALU_DEP_2)
	v_add_co_u32 v21, vcc_lo, v22, v21
	v_add_co_ci_u32_e32 v21, vcc_lo, v23, v25, vcc_lo
	v_add_co_ci_u32_e32 v22, vcc_lo, 0, v26, vcc_lo
	v_ashrrev_i32_e32 v25, 31, v10
	s_delay_alu instid0(VALU_DEP_3) | instskip(NEXT) | instid1(VALU_DEP_3)
	v_add_co_u32 v11, vcc_lo, v21, v11
	v_add_co_ci_u32_e32 v21, vcc_lo, 0, v22, vcc_lo
	s_delay_alu instid0(VALU_DEP_2) | instskip(NEXT) | instid1(VALU_DEP_2)
	v_add_co_u32 v7, vcc_lo, v7, v11
	v_add_co_ci_u32_e32 v8, vcc_lo, v8, v21, vcc_lo
	s_delay_alu instid0(VALU_DEP_2) | instskip(SKIP_1) | instid1(VALU_DEP_3)
	v_mul_hi_u32 v11, s3, v7
	v_mul_lo_u32 v22, s5, v7
	v_mul_lo_u32 v21, s3, v8
	s_delay_alu instid0(VALU_DEP_1) | instskip(SKIP_1) | instid1(VALU_DEP_2)
	v_add_nc_u32_e32 v11, v11, v21
	v_mul_lo_u32 v21, s3, v7
	v_add_nc_u32_e32 v11, v11, v22
	s_delay_alu instid0(VALU_DEP_2) | instskip(NEXT) | instid1(VALU_DEP_2)
	v_mul_hi_u32 v22, v7, v21
	v_mul_lo_u32 v23, v7, v11
	v_mul_hi_u32 v24, v7, v11
	v_mul_hi_u32 v26, v8, v21
	v_mul_lo_u32 v21, v8, v21
	v_mul_hi_u32 v27, v8, v11
	v_mul_lo_u32 v11, v8, v11
	v_add_co_u32 v22, vcc_lo, v22, v23
	v_add_co_ci_u32_e32 v23, vcc_lo, 0, v24, vcc_lo
	s_delay_alu instid0(VALU_DEP_2) | instskip(NEXT) | instid1(VALU_DEP_2)
	v_add_co_u32 v21, vcc_lo, v22, v21
	v_add_co_ci_u32_e32 v21, vcc_lo, v23, v26, vcc_lo
	v_add_co_ci_u32_e32 v22, vcc_lo, 0, v27, vcc_lo
	v_add_co_u32 v9, vcc_lo, v9, v25
	v_add_co_ci_u32_e32 v10, vcc_lo, v10, v25, vcc_lo
	s_delay_alu instid0(VALU_DEP_4) | instskip(NEXT) | instid1(VALU_DEP_4)
	v_add_co_u32 v11, vcc_lo, v21, v11
	v_add_co_ci_u32_e32 v21, vcc_lo, 0, v22, vcc_lo
	s_delay_alu instid0(VALU_DEP_4) | instskip(NEXT) | instid1(VALU_DEP_3)
	v_xor_b32_e32 v23, v9, v25
	v_add_co_u32 v11, vcc_lo, v7, v11
	s_delay_alu instid0(VALU_DEP_3) | instskip(SKIP_1) | instid1(VALU_DEP_3)
	v_add_co_ci_u32_e32 v24, vcc_lo, v8, v21, vcc_lo
	v_xor_b32_e32 v26, v10, v25
	v_mul_hi_u32 v27, v23, v11
	s_delay_alu instid0(VALU_DEP_3) | instskip(NEXT) | instid1(VALU_DEP_3)
	v_mad_u64_u32 v[7:8], null, v23, v24, 0
	v_mad_u64_u32 v[9:10], null, v26, v11, 0
	;; [unrolled: 1-line block ×3, first 2 shown]
	s_delay_alu instid0(VALU_DEP_3) | instskip(NEXT) | instid1(VALU_DEP_4)
	v_add_co_u32 v7, vcc_lo, v27, v7
	v_add_co_ci_u32_e32 v8, vcc_lo, 0, v8, vcc_lo
	s_delay_alu instid0(VALU_DEP_2) | instskip(NEXT) | instid1(VALU_DEP_2)
	v_add_co_u32 v7, vcc_lo, v7, v9
	v_add_co_ci_u32_e32 v7, vcc_lo, v8, v10, vcc_lo
	v_add_co_ci_u32_e32 v8, vcc_lo, 0, v22, vcc_lo
	s_delay_alu instid0(VALU_DEP_2) | instskip(NEXT) | instid1(VALU_DEP_2)
	v_add_co_u32 v9, vcc_lo, v7, v21
	v_add_co_ci_u32_e32 v10, vcc_lo, 0, v8, vcc_lo
	s_delay_alu instid0(VALU_DEP_2) | instskip(SKIP_1) | instid1(VALU_DEP_3)
	v_mul_lo_u32 v11, s7, v9
	v_mad_u64_u32 v[7:8], null, s6, v9, 0
	v_mul_lo_u32 v10, s6, v10
	s_delay_alu instid0(VALU_DEP_2) | instskip(NEXT) | instid1(VALU_DEP_2)
	v_sub_co_u32 v7, vcc_lo, v23, v7
	v_add3_u32 v8, v8, v10, v11
	v_add_co_u32 v11, s3, v9, 2
	s_delay_alu instid0(VALU_DEP_2) | instskip(NEXT) | instid1(VALU_DEP_1)
	v_sub_nc_u32_e32 v10, v26, v8
	v_subrev_co_ci_u32_e64 v10, s3, s7, v10, vcc_lo
	v_sub_co_u32 v21, s3, v7, s6
	v_sub_co_ci_u32_e32 v8, vcc_lo, v26, v8, vcc_lo
	s_delay_alu instid0(VALU_DEP_3) | instskip(NEXT) | instid1(VALU_DEP_3)
	v_subrev_co_ci_u32_e64 v10, s3, 0, v10, s3
	v_cmp_le_u32_e32 vcc_lo, s6, v21
	v_cndmask_b32_e64 v21, 0, -1, vcc_lo
	s_delay_alu instid0(VALU_DEP_3)
	v_cmp_le_u32_e32 vcc_lo, s7, v10
	v_cndmask_b32_e64 v22, 0, -1, vcc_lo
	v_cmp_le_u32_e32 vcc_lo, s6, v7
	v_cndmask_b32_e64 v7, 0, -1, vcc_lo
	;; [unrolled: 2-line block ×3, first 2 shown]
	v_cmp_eq_u32_e32 vcc_lo, s7, v10
	v_cndmask_b32_e32 v10, v22, v21, vcc_lo
	v_add_co_u32 v21, vcc_lo, v9, 1
	v_cmp_eq_u32_e32 vcc_lo, s7, v8
	v_cndmask_b32_e32 v7, v23, v7, vcc_lo
	s_delay_alu instid0(VALU_DEP_4) | instskip(NEXT) | instid1(VALU_DEP_4)
	v_cmp_ne_u32_e32 vcc_lo, 0, v10
	v_cndmask_b32_e32 v8, v21, v11, vcc_lo
	s_delay_alu instid0(VALU_DEP_3) | instskip(NEXT) | instid1(VALU_DEP_2)
	v_cmp_ne_u32_e32 vcc_lo, 0, v7
	v_cndmask_b32_e32 v7, v9, v8, vcc_lo
	v_xor_b32_e32 v8, s4, v25
                                        ; implicit-def: $vgpr9_vgpr10
	s_delay_alu instid0(VALU_DEP_1) | instskip(NEXT) | instid1(VALU_DEP_1)
	v_xor_b32_e32 v7, v7, v8
	v_sub_co_u32 v7, vcc_lo, v7, v8
.LBB1_36:                               ;   in Loop: Header=BB1_30 Depth=2
	s_and_not1_saveexec_b32 s3, s36
	s_cbranch_execz .LBB1_38
; %bb.37:                               ;   in Loop: Header=BB1_30 Depth=2
	v_rcp_iflag_f32_e32 v7, v20
	s_sub_i32 s4, 0, s30
	s_waitcnt_depctr 0xfff
	v_mul_f32_e32 v7, 0x4f7ffffe, v7
	s_delay_alu instid0(VALU_DEP_1) | instskip(NEXT) | instid1(VALU_DEP_1)
	v_cvt_u32_f32_e32 v7, v7
	v_mul_lo_u32 v8, s4, v7
	s_delay_alu instid0(VALU_DEP_1) | instskip(NEXT) | instid1(VALU_DEP_1)
	v_mul_hi_u32 v8, v7, v8
	v_add_nc_u32_e32 v7, v7, v8
	s_delay_alu instid0(VALU_DEP_1) | instskip(NEXT) | instid1(VALU_DEP_1)
	v_mul_hi_u32 v7, v9, v7
	v_mul_lo_u32 v8, v7, s30
	s_delay_alu instid0(VALU_DEP_1) | instskip(SKIP_1) | instid1(VALU_DEP_2)
	v_sub_nc_u32_e32 v8, v9, v8
	v_add_nc_u32_e32 v9, 1, v7
	v_subrev_nc_u32_e32 v10, s30, v8
	v_cmp_le_u32_e32 vcc_lo, s30, v8
	s_delay_alu instid0(VALU_DEP_2) | instskip(NEXT) | instid1(VALU_DEP_1)
	v_dual_cndmask_b32 v8, v8, v10 :: v_dual_cndmask_b32 v7, v7, v9
	v_cmp_le_u32_e32 vcc_lo, s30, v8
	s_delay_alu instid0(VALU_DEP_2) | instskip(NEXT) | instid1(VALU_DEP_1)
	v_add_nc_u32_e32 v9, 1, v7
	v_cndmask_b32_e32 v7, v7, v9, vcc_lo
.LBB1_38:                               ;   in Loop: Header=BB1_30 Depth=2
	s_or_b32 exec_lo, exec_lo, s3
	v_add_co_u32 v10, s3, v3, 1
	s_delay_alu instid0(VALU_DEP_1) | instskip(NEXT) | instid1(VALU_DEP_2)
	v_add_co_ci_u32_e64 v8, null, 0, 0, s3
	v_mul_lo_u32 v11, v10, s26
	s_delay_alu instid0(VALU_DEP_2) | instskip(SKIP_2) | instid1(VALU_DEP_2)
	v_mul_lo_u32 v21, v8, s18
	v_mad_u64_u32 v[8:9], null, v10, s18, -1
	v_mov_b32_e32 v10, v4
	v_add3_u32 v9, v21, v9, v11
	s_delay_alu instid0(VALU_DEP_1) | instskip(NEXT) | instid1(VALU_DEP_1)
	v_or_b32_e32 v11, s19, v9
	v_cmp_ne_u64_e32 vcc_lo, 0, v[10:11]
                                        ; implicit-def: $vgpr10_vgpr11
	s_and_saveexec_b32 s3, vcc_lo
	s_delay_alu instid0(SALU_CYCLE_1)
	s_xor_b32 s36, exec_lo, s3
	s_cbranch_execz .LBB1_40
; %bb.39:                               ;   in Loop: Header=BB1_30 Depth=2
	s_add_u32 s6, s30, s19
	s_mov_b32 s4, s19
	s_mov_b32 s5, s19
	s_addc_u32 s7, s19, s19
	s_delay_alu instid0(SALU_CYCLE_1) | instskip(NEXT) | instid1(SALU_CYCLE_1)
	s_xor_b64 s[6:7], s[6:7], s[4:5]
	v_cvt_f32_u32_e32 v10, s6
	v_cvt_f32_u32_e32 v11, s7
	s_sub_u32 s3, 0, s6
	s_subb_u32 s5, 0, s7
	s_delay_alu instid0(VALU_DEP_1) | instskip(NEXT) | instid1(VALU_DEP_1)
	v_fmac_f32_e32 v10, 0x4f800000, v11
	v_rcp_f32_e32 v10, v10
	s_waitcnt_depctr 0xfff
	v_mul_f32_e32 v10, 0x5f7ffffc, v10
	s_delay_alu instid0(VALU_DEP_1) | instskip(NEXT) | instid1(VALU_DEP_1)
	v_mul_f32_e32 v11, 0x2f800000, v10
	v_trunc_f32_e32 v11, v11
	s_delay_alu instid0(VALU_DEP_1) | instskip(SKIP_1) | instid1(VALU_DEP_2)
	v_fmac_f32_e32 v10, 0xcf800000, v11
	v_cvt_u32_f32_e32 v11, v11
	v_cvt_u32_f32_e32 v10, v10
	s_delay_alu instid0(VALU_DEP_2) | instskip(NEXT) | instid1(VALU_DEP_2)
	v_mul_lo_u32 v20, s3, v11
	v_mul_hi_u32 v21, s3, v10
	v_mul_lo_u32 v22, s5, v10
	s_delay_alu instid0(VALU_DEP_2) | instskip(SKIP_1) | instid1(VALU_DEP_2)
	v_add_nc_u32_e32 v20, v21, v20
	v_mul_lo_u32 v21, s3, v10
	v_add_nc_u32_e32 v20, v20, v22
	s_delay_alu instid0(VALU_DEP_2) | instskip(NEXT) | instid1(VALU_DEP_2)
	v_mul_hi_u32 v22, v10, v21
	v_mul_lo_u32 v23, v10, v20
	v_mul_hi_u32 v24, v10, v20
	v_mul_hi_u32 v25, v11, v21
	v_mul_lo_u32 v21, v11, v21
	v_mul_hi_u32 v26, v11, v20
	v_mul_lo_u32 v20, v11, v20
	v_add_co_u32 v22, vcc_lo, v22, v23
	v_add_co_ci_u32_e32 v23, vcc_lo, 0, v24, vcc_lo
	s_delay_alu instid0(VALU_DEP_2) | instskip(NEXT) | instid1(VALU_DEP_2)
	v_add_co_u32 v21, vcc_lo, v22, v21
	v_add_co_ci_u32_e32 v21, vcc_lo, v23, v25, vcc_lo
	v_add_co_ci_u32_e32 v22, vcc_lo, 0, v26, vcc_lo
	v_ashrrev_i32_e32 v25, 31, v9
	s_delay_alu instid0(VALU_DEP_3) | instskip(NEXT) | instid1(VALU_DEP_3)
	v_add_co_u32 v20, vcc_lo, v21, v20
	v_add_co_ci_u32_e32 v21, vcc_lo, 0, v22, vcc_lo
	s_delay_alu instid0(VALU_DEP_2) | instskip(NEXT) | instid1(VALU_DEP_2)
	v_add_co_u32 v10, vcc_lo, v10, v20
	v_add_co_ci_u32_e32 v11, vcc_lo, v11, v21, vcc_lo
	s_delay_alu instid0(VALU_DEP_2) | instskip(SKIP_1) | instid1(VALU_DEP_3)
	v_mul_hi_u32 v20, s3, v10
	v_mul_lo_u32 v22, s5, v10
	v_mul_lo_u32 v21, s3, v11
	s_delay_alu instid0(VALU_DEP_1) | instskip(SKIP_1) | instid1(VALU_DEP_2)
	v_add_nc_u32_e32 v20, v20, v21
	v_mul_lo_u32 v21, s3, v10
	v_add_nc_u32_e32 v20, v20, v22
	s_delay_alu instid0(VALU_DEP_2) | instskip(NEXT) | instid1(VALU_DEP_2)
	v_mul_hi_u32 v22, v10, v21
	v_mul_lo_u32 v23, v10, v20
	v_mul_hi_u32 v24, v10, v20
	v_mul_hi_u32 v26, v11, v21
	v_mul_lo_u32 v21, v11, v21
	v_mul_hi_u32 v27, v11, v20
	v_mul_lo_u32 v20, v11, v20
	v_add_co_u32 v22, vcc_lo, v22, v23
	v_add_co_ci_u32_e32 v23, vcc_lo, 0, v24, vcc_lo
	s_delay_alu instid0(VALU_DEP_2) | instskip(NEXT) | instid1(VALU_DEP_2)
	v_add_co_u32 v21, vcc_lo, v22, v21
	v_add_co_ci_u32_e32 v21, vcc_lo, v23, v26, vcc_lo
	v_add_co_ci_u32_e32 v22, vcc_lo, 0, v27, vcc_lo
	v_add_co_u32 v8, vcc_lo, v8, v25
	v_add_co_ci_u32_e32 v9, vcc_lo, v9, v25, vcc_lo
	s_delay_alu instid0(VALU_DEP_4) | instskip(NEXT) | instid1(VALU_DEP_4)
	v_add_co_u32 v20, vcc_lo, v21, v20
	v_add_co_ci_u32_e32 v21, vcc_lo, 0, v22, vcc_lo
	s_delay_alu instid0(VALU_DEP_4) | instskip(NEXT) | instid1(VALU_DEP_3)
	v_xor_b32_e32 v22, v8, v25
	v_add_co_u32 v20, vcc_lo, v10, v20
	s_delay_alu instid0(VALU_DEP_3) | instskip(SKIP_1) | instid1(VALU_DEP_3)
	v_add_co_ci_u32_e32 v23, vcc_lo, v11, v21, vcc_lo
	v_xor_b32_e32 v24, v9, v25
	v_mul_hi_u32 v26, v22, v20
	s_delay_alu instid0(VALU_DEP_3) | instskip(NEXT) | instid1(VALU_DEP_3)
	v_mad_u64_u32 v[8:9], null, v22, v23, 0
	v_mad_u64_u32 v[10:11], null, v24, v20, 0
	;; [unrolled: 1-line block ×3, first 2 shown]
	s_delay_alu instid0(VALU_DEP_3) | instskip(NEXT) | instid1(VALU_DEP_4)
	v_add_co_u32 v8, vcc_lo, v26, v8
	v_add_co_ci_u32_e32 v9, vcc_lo, 0, v9, vcc_lo
	s_delay_alu instid0(VALU_DEP_2) | instskip(NEXT) | instid1(VALU_DEP_2)
	v_add_co_u32 v8, vcc_lo, v8, v10
	v_add_co_ci_u32_e32 v8, vcc_lo, v9, v11, vcc_lo
	v_add_co_ci_u32_e32 v9, vcc_lo, 0, v21, vcc_lo
	s_delay_alu instid0(VALU_DEP_2) | instskip(NEXT) | instid1(VALU_DEP_2)
	v_add_co_u32 v10, vcc_lo, v8, v20
	v_add_co_ci_u32_e32 v11, vcc_lo, 0, v9, vcc_lo
	s_delay_alu instid0(VALU_DEP_2) | instskip(SKIP_1) | instid1(VALU_DEP_3)
	v_mul_lo_u32 v20, s7, v10
	v_mad_u64_u32 v[8:9], null, s6, v10, 0
	v_mul_lo_u32 v11, s6, v11
	s_delay_alu instid0(VALU_DEP_2) | instskip(NEXT) | instid1(VALU_DEP_2)
	v_sub_co_u32 v8, vcc_lo, v22, v8
	v_add3_u32 v9, v9, v11, v20
	v_add_co_u32 v20, s3, v10, 2
	s_delay_alu instid0(VALU_DEP_2) | instskip(NEXT) | instid1(VALU_DEP_1)
	v_sub_nc_u32_e32 v11, v24, v9
	v_subrev_co_ci_u32_e64 v11, s3, s7, v11, vcc_lo
	v_sub_co_u32 v21, s3, v8, s6
	v_sub_co_ci_u32_e32 v9, vcc_lo, v24, v9, vcc_lo
	s_delay_alu instid0(VALU_DEP_3) | instskip(NEXT) | instid1(VALU_DEP_3)
	v_subrev_co_ci_u32_e64 v11, s3, 0, v11, s3
	v_cmp_le_u32_e32 vcc_lo, s6, v21
	v_cndmask_b32_e64 v21, 0, -1, vcc_lo
	s_delay_alu instid0(VALU_DEP_3)
	v_cmp_le_u32_e32 vcc_lo, s7, v11
	v_cndmask_b32_e64 v22, 0, -1, vcc_lo
	v_cmp_le_u32_e32 vcc_lo, s6, v8
	v_cndmask_b32_e64 v8, 0, -1, vcc_lo
	;; [unrolled: 2-line block ×3, first 2 shown]
	v_cmp_eq_u32_e32 vcc_lo, s7, v11
	v_cndmask_b32_e32 v11, v22, v21, vcc_lo
	v_add_co_u32 v21, vcc_lo, v10, 1
	v_cmp_eq_u32_e32 vcc_lo, s7, v9
	v_cndmask_b32_e32 v8, v23, v8, vcc_lo
	s_delay_alu instid0(VALU_DEP_4) | instskip(NEXT) | instid1(VALU_DEP_4)
	v_cmp_ne_u32_e32 vcc_lo, 0, v11
	v_cndmask_b32_e32 v9, v21, v20, vcc_lo
	s_delay_alu instid0(VALU_DEP_3) | instskip(NEXT) | instid1(VALU_DEP_2)
	v_cmp_ne_u32_e32 vcc_lo, 0, v8
                                        ; implicit-def: $vgpr20
	v_cndmask_b32_e32 v8, v10, v9, vcc_lo
	v_xor_b32_e32 v9, s4, v25
	s_delay_alu instid0(VALU_DEP_1) | instskip(NEXT) | instid1(VALU_DEP_1)
	v_xor_b32_e32 v8, v8, v9
	v_sub_co_u32 v10, vcc_lo, v8, v9
                                        ; implicit-def: $vgpr8_vgpr9
.LBB1_40:                               ;   in Loop: Header=BB1_30 Depth=2
	s_and_not1_saveexec_b32 s3, s36
	s_cbranch_execz .LBB1_42
; %bb.41:                               ;   in Loop: Header=BB1_30 Depth=2
	v_rcp_iflag_f32_e32 v9, v20
	s_sub_i32 s4, 0, s30
	s_waitcnt_depctr 0xfff
	v_mul_f32_e32 v9, 0x4f7ffffe, v9
	s_delay_alu instid0(VALU_DEP_1) | instskip(NEXT) | instid1(VALU_DEP_1)
	v_cvt_u32_f32_e32 v9, v9
	v_mul_lo_u32 v10, s4, v9
	s_delay_alu instid0(VALU_DEP_1) | instskip(NEXT) | instid1(VALU_DEP_1)
	v_mul_hi_u32 v10, v9, v10
	v_add_nc_u32_e32 v9, v9, v10
	s_delay_alu instid0(VALU_DEP_1) | instskip(NEXT) | instid1(VALU_DEP_1)
	v_mul_hi_u32 v9, v8, v9
	v_mul_lo_u32 v10, v9, s30
	s_delay_alu instid0(VALU_DEP_1) | instskip(SKIP_1) | instid1(VALU_DEP_2)
	v_sub_nc_u32_e32 v8, v8, v10
	v_add_nc_u32_e32 v10, 1, v9
	v_subrev_nc_u32_e32 v11, s30, v8
	v_cmp_le_u32_e32 vcc_lo, s30, v8
	s_delay_alu instid0(VALU_DEP_2) | instskip(NEXT) | instid1(VALU_DEP_1)
	v_dual_cndmask_b32 v8, v8, v11 :: v_dual_cndmask_b32 v9, v9, v10
	v_cmp_le_u32_e32 vcc_lo, s30, v8
	s_delay_alu instid0(VALU_DEP_2) | instskip(NEXT) | instid1(VALU_DEP_1)
	v_add_nc_u32_e32 v10, 1, v9
	v_cndmask_b32_e32 v10, v9, v10, vcc_lo
.LBB1_42:                               ;   in Loop: Header=BB1_30 Depth=2
	s_or_b32 exec_lo, exec_lo, s3
	v_mad_u64_u32 v[8:9], null, v6, s18, v[7:8]
	s_and_not1_b32 vcc_lo, exec_lo, s1
	s_delay_alu instid0(VALU_DEP_1) | instskip(NEXT) | instid1(VALU_DEP_1)
	v_sub_nc_u32_e32 v6, v10, v8
	v_dual_mov_b32 v6, 0 :: v_dual_add_nc_u32 v7, 1, v6
	s_cbranch_vccnz .LBB1_29
; %bb.43:                               ;   in Loop: Header=BB1_30 Depth=2
	s_delay_alu instid0(VALU_DEP_1)
	v_cmp_lt_i32_e64 s3, 0, v7
	v_mov_b32_e32 v6, 0
	s_mov_b32 s4, 0
	s_branch .LBB1_46
.LBB1_44:                               ;   in Loop: Header=BB1_46 Depth=3
	s_or_b32 exec_lo, exec_lo, s6
.LBB1_45:                               ;   in Loop: Header=BB1_46 Depth=3
	s_delay_alu instid0(SALU_CYCLE_1) | instskip(SKIP_1) | instid1(SALU_CYCLE_1)
	s_or_b32 exec_lo, exec_lo, s5
	s_add_i32 s4, s4, 1
	v_cmp_ne_u32_e32 vcc_lo, s4, v13
	s_cbranch_vccz .LBB1_29
.LBB1_46:                               ;   Parent Loop BB1_15 Depth=1
                                        ;     Parent Loop BB1_30 Depth=2
                                        ; =>    This Loop Header: Depth=3
                                        ;         Child Loop BB1_49 Depth 4
                                        ;           Child Loop BB1_51 Depth 5
	s_and_saveexec_b32 s5, s2
	s_cbranch_execz .LBB1_45
; %bb.47:                               ;   in Loop: Header=BB1_46 Depth=3
	v_add_nc_u32_e32 v9, s4, v1
	s_mov_b32 s6, 0
	s_mov_b32 s7, 0
	s_delay_alu instid0(VALU_DEP_1) | instskip(SKIP_3) | instid1(VALU_DEP_4)
	v_ashrrev_i32_e32 v10, 31, v9
	v_mul_lo_u32 v11, v9, s11
	v_mul_hi_u32 v20, v9, s10
	v_mul_lo_u32 v9, v9, s10
	v_mul_lo_u32 v10, v10, s10
	s_delay_alu instid0(VALU_DEP_3) | instskip(NEXT) | instid1(VALU_DEP_1)
	v_add_nc_u32_e32 v11, v20, v11
	v_add_nc_u32_e32 v10, v11, v10
	s_delay_alu instid0(VALU_DEP_1) | instskip(NEXT) | instid1(VALU_DEP_1)
	v_lshlrev_b64 v[9:10], 2, v[9:10]
	v_add_co_u32 v9, vcc_lo, s9, v9
	s_delay_alu instid0(VALU_DEP_2)
	v_add_co_ci_u32_e32 v10, vcc_lo, s27, v10, vcc_lo
	s_branch .LBB1_49
.LBB1_48:                               ;   in Loop: Header=BB1_49 Depth=4
	s_or_b32 exec_lo, exec_lo, s36
	s_add_i32 s7, s7, 1
	s_delay_alu instid0(SALU_CYCLE_1) | instskip(SKIP_1) | instid1(SALU_CYCLE_1)
	v_cmp_ge_i32_e32 vcc_lo, s7, v16
	s_or_b32 s6, vcc_lo, s6
	s_and_not1_b32 exec_lo, exec_lo, s6
	s_cbranch_execz .LBB1_44
.LBB1_49:                               ;   Parent Loop BB1_15 Depth=1
                                        ;     Parent Loop BB1_30 Depth=2
                                        ;       Parent Loop BB1_46 Depth=3
                                        ; =>      This Loop Header: Depth=4
                                        ;           Child Loop BB1_51 Depth 5
	s_and_saveexec_b32 s36, s3
	s_cbranch_execz .LBB1_48
; %bb.50:                               ;   in Loop: Header=BB1_49 Depth=4
	v_add_nc_u32_e32 v11, s7, v5
	s_mov_b32 s37, 0
	s_mov_b32 s38, 0
	s_delay_alu instid0(VALU_DEP_1) | instskip(SKIP_2) | instid1(VALU_DEP_3)
	v_ashrrev_i32_e32 v22, 31, v11
	v_mul_lo_u32 v23, v11, s13
	v_mad_u64_u32 v[20:21], null, v11, s12, 0
	v_mul_lo_u32 v11, v22, s12
	s_delay_alu instid0(VALU_DEP_1) | instskip(NEXT) | instid1(VALU_DEP_1)
	v_add3_u32 v21, v21, v23, v11
	v_lshlrev_b64 v[20:21], 2, v[20:21]
	s_delay_alu instid0(VALU_DEP_1) | instskip(NEXT) | instid1(VALU_DEP_2)
	v_add_co_u32 v11, vcc_lo, v9, v20
	v_add_co_ci_u32_e32 v20, vcc_lo, v10, v21, vcc_lo
	.p2align	6
.LBB1_51:                               ;   Parent Loop BB1_15 Depth=1
                                        ;     Parent Loop BB1_30 Depth=2
                                        ;       Parent Loop BB1_46 Depth=3
                                        ;         Parent Loop BB1_49 Depth=4
                                        ; =>        This Inner Loop Header: Depth=5
	v_add_nc_u32_e32 v23, s38, v8
	s_add_i32 s38, s38, 1
	s_delay_alu instid0(VALU_DEP_1) | instskip(SKIP_2) | instid1(VALU_DEP_3)
	v_ashrrev_i32_e32 v24, 31, v23
	v_mul_lo_u32 v25, v23, s15
	v_mad_u64_u32 v[21:22], null, v23, s14, 0
	v_mul_lo_u32 v23, v24, s14
	s_delay_alu instid0(VALU_DEP_1) | instskip(NEXT) | instid1(VALU_DEP_1)
	v_add3_u32 v22, v22, v25, v23
	v_lshlrev_b64 v[21:22], 2, v[21:22]
	s_delay_alu instid0(VALU_DEP_1) | instskip(NEXT) | instid1(VALU_DEP_2)
	v_add_co_u32 v21, vcc_lo, v11, v21
	v_add_co_ci_u32_e32 v22, vcc_lo, v20, v22, vcc_lo
	v_cmp_ge_i32_e32 vcc_lo, s38, v7
	global_load_b32 v21, v[21:22], off
	s_or_b32 s37, vcc_lo, s37
	s_waitcnt vmcnt(0)
	v_add_f32_e32 v6, v6, v21
	s_and_not1_b32 exec_lo, exec_lo, s37
	s_cbranch_execnz .LBB1_51
; %bb.52:                               ;   in Loop: Header=BB1_49 Depth=4
	s_or_b32 exec_lo, exec_lo, s37
	s_branch .LBB1_48
.LBB1_53:
	s_nop 0
	s_sendmsg sendmsg(MSG_DEALLOC_VGPRS)
	s_endpgm
.LBB1_54:
                                        ; implicit-def: $sgpr24_sgpr25
	v_cvt_f32_u32_e32 v3, s4
	s_branch .LBB1_2
.LBB1_55:
                                        ; implicit-def: $vgpr1_vgpr2
	s_branch .LBB1_5
.LBB1_56:
                                        ; implicit-def: $vgpr4_vgpr5
	s_load_b32 s36, s[0:1], 0x6c
	s_branch .LBB1_8
.LBB1_57:
                                        ; implicit-def: $sgpr28_sgpr29
	s_load_b32 s31, s[0:1], 0x64
	s_branch .LBB1_12
	.section	.rodata,"a",@progbits
	.p2align	6, 0x0
	.amdhsa_kernel _ZN2at6native12_GLOBAL__N_119adaptiveaveragepoolIffEEvPKT_PS3_iiiiiilllllll
		.amdhsa_group_segment_fixed_size 0
		.amdhsa_private_segment_fixed_size 0
		.amdhsa_kernarg_size 352
		.amdhsa_user_sgpr_count 14
		.amdhsa_user_sgpr_dispatch_ptr 0
		.amdhsa_user_sgpr_queue_ptr 0
		.amdhsa_user_sgpr_kernarg_segment_ptr 1
		.amdhsa_user_sgpr_dispatch_id 0
		.amdhsa_user_sgpr_private_segment_size 0
		.amdhsa_wavefront_size32 1
		.amdhsa_uses_dynamic_stack 0
		.amdhsa_enable_private_segment 0
		.amdhsa_system_sgpr_workgroup_id_x 1
		.amdhsa_system_sgpr_workgroup_id_y 1
		.amdhsa_system_sgpr_workgroup_id_z 0
		.amdhsa_system_sgpr_workgroup_info 0
		.amdhsa_system_vgpr_workitem_id 1
		.amdhsa_next_free_vgpr 28
		.amdhsa_next_free_sgpr 43
		.amdhsa_reserve_vcc 1
		.amdhsa_float_round_mode_32 0
		.amdhsa_float_round_mode_16_64 0
		.amdhsa_float_denorm_mode_32 3
		.amdhsa_float_denorm_mode_16_64 3
		.amdhsa_dx10_clamp 1
		.amdhsa_ieee_mode 1
		.amdhsa_fp16_overflow 0
		.amdhsa_workgroup_processor_mode 1
		.amdhsa_memory_ordered 1
		.amdhsa_forward_progress 0
		.amdhsa_shared_vgpr_count 0
		.amdhsa_exception_fp_ieee_invalid_op 0
		.amdhsa_exception_fp_denorm_src 0
		.amdhsa_exception_fp_ieee_div_zero 0
		.amdhsa_exception_fp_ieee_overflow 0
		.amdhsa_exception_fp_ieee_underflow 0
		.amdhsa_exception_fp_ieee_inexact 0
		.amdhsa_exception_int_div_zero 0
	.end_amdhsa_kernel
	.section	.text._ZN2at6native12_GLOBAL__N_119adaptiveaveragepoolIffEEvPKT_PS3_iiiiiilllllll,"axG",@progbits,_ZN2at6native12_GLOBAL__N_119adaptiveaveragepoolIffEEvPKT_PS3_iiiiiilllllll,comdat
.Lfunc_end1:
	.size	_ZN2at6native12_GLOBAL__N_119adaptiveaveragepoolIffEEvPKT_PS3_iiiiiilllllll, .Lfunc_end1-_ZN2at6native12_GLOBAL__N_119adaptiveaveragepoolIffEEvPKT_PS3_iiiiiilllllll
                                        ; -- End function
	.section	.AMDGPU.csdata,"",@progbits
; Kernel info:
; codeLenInByte = 9612
; NumSgprs: 45
; NumVgprs: 28
; ScratchSize: 0
; MemoryBound: 0
; FloatMode: 240
; IeeeMode: 1
; LDSByteSize: 0 bytes/workgroup (compile time only)
; SGPRBlocks: 5
; VGPRBlocks: 3
; NumSGPRsForWavesPerEU: 45
; NumVGPRsForWavesPerEU: 28
; Occupancy: 16
; WaveLimiterHint : 0
; COMPUTE_PGM_RSRC2:SCRATCH_EN: 0
; COMPUTE_PGM_RSRC2:USER_SGPR: 14
; COMPUTE_PGM_RSRC2:TRAP_HANDLER: 0
; COMPUTE_PGM_RSRC2:TGID_X_EN: 1
; COMPUTE_PGM_RSRC2:TGID_Y_EN: 1
; COMPUTE_PGM_RSRC2:TGID_Z_EN: 0
; COMPUTE_PGM_RSRC2:TIDIG_COMP_CNT: 1
	.section	.text._ZN2at6native12_GLOBAL__N_119adaptiveaveragepoolIN3c104HalfEfEEvPKT_PS5_iiiiiilllllll,"axG",@progbits,_ZN2at6native12_GLOBAL__N_119adaptiveaveragepoolIN3c104HalfEfEEvPKT_PS5_iiiiiilllllll,comdat
	.globl	_ZN2at6native12_GLOBAL__N_119adaptiveaveragepoolIN3c104HalfEfEEvPKT_PS5_iiiiiilllllll ; -- Begin function _ZN2at6native12_GLOBAL__N_119adaptiveaveragepoolIN3c104HalfEfEEvPKT_PS5_iiiiiilllllll
	.p2align	8
	.type	_ZN2at6native12_GLOBAL__N_119adaptiveaveragepoolIN3c104HalfEfEEvPKT_PS5_iiiiiilllllll,@function
_ZN2at6native12_GLOBAL__N_119adaptiveaveragepoolIN3c104HalfEfEEvPKT_PS5_iiiiiilllllll: ; @_ZN2at6native12_GLOBAL__N_119adaptiveaveragepoolIN3c104HalfEfEEvPKT_PS5_iiiiiilllllll
; %bb.0:
	s_clause 0x2
	s_load_b64 s[2:3], s[0:1], 0x58
	s_load_b128 s[16:19], s[0:1], 0x10
	s_load_b64 s[20:21], s[0:1], 0x20
	s_waitcnt lgkmcnt(0)
	s_add_u32 s22, s14, s2
	s_addc_u32 s23, 0, s3
	s_ashr_i32 s5, s19, 31
	s_mov_b32 s4, s19
	s_delay_alu instid0(SALU_CYCLE_1) | instskip(SKIP_1) | instid1(SALU_CYCLE_1)
	s_or_b64 s[2:3], s[22:23], s[4:5]
	s_mov_b32 s2, 0
	s_cmp_lg_u64 s[2:3], 0
	s_cbranch_scc0 .LBB2_54
; %bb.1:
	s_add_u32 s8, s4, s5
	s_mov_b32 s6, s5
	s_mov_b32 s7, s5
	s_addc_u32 s9, s5, s5
	s_delay_alu instid0(SALU_CYCLE_1) | instskip(NEXT) | instid1(SALU_CYCLE_1)
	s_xor_b64 s[8:9], s[8:9], s[6:7]
	v_cvt_f32_u32_e32 v1, s8
	v_cvt_f32_u32_e32 v2, s9
	s_sub_u32 s11, 0, s8
	s_subb_u32 s12, 0, s9
	s_delay_alu instid0(VALU_DEP_1) | instskip(NEXT) | instid1(VALU_DEP_1)
	v_fmamk_f32 v1, v2, 0x4f800000, v1
	v_rcp_f32_e32 v1, v1
	s_waitcnt_depctr 0xfff
	v_mul_f32_e32 v1, 0x5f7ffffc, v1
	s_delay_alu instid0(VALU_DEP_1) | instskip(NEXT) | instid1(VALU_DEP_1)
	v_mul_f32_e32 v2, 0x2f800000, v1
	v_trunc_f32_e32 v2, v2
	s_delay_alu instid0(VALU_DEP_1) | instskip(SKIP_1) | instid1(VALU_DEP_2)
	v_fmamk_f32 v1, v2, 0xcf800000, v1
	v_cvt_u32_f32_e32 v2, v2
	v_cvt_u32_f32_e32 v1, v1
	s_delay_alu instid0(VALU_DEP_2) | instskip(NEXT) | instid1(VALU_DEP_2)
	v_readfirstlane_b32 s3, v2
	v_readfirstlane_b32 s10, v1
	s_delay_alu instid0(VALU_DEP_2) | instskip(NEXT) | instid1(VALU_DEP_1)
	s_mul_i32 s13, s11, s3
	s_mul_hi_u32 s19, s11, s10
	s_mul_i32 s14, s12, s10
	s_add_i32 s13, s19, s13
	s_mul_i32 s24, s11, s10
	s_add_i32 s13, s13, s14
	s_mul_hi_u32 s19, s10, s24
	s_mul_hi_u32 s25, s3, s24
	s_mul_i32 s14, s3, s24
	s_mul_hi_u32 s24, s10, s13
	s_mul_i32 s10, s10, s13
	s_mul_hi_u32 s26, s3, s13
	s_add_u32 s10, s19, s10
	s_addc_u32 s19, 0, s24
	s_add_u32 s10, s10, s14
	s_mul_i32 s13, s3, s13
	s_addc_u32 s10, s19, s25
	s_addc_u32 s14, s26, 0
	s_add_u32 s10, s10, s13
	s_addc_u32 s13, 0, s14
	v_add_co_u32 v1, s10, v1, s10
	s_delay_alu instid0(VALU_DEP_1) | instskip(SKIP_1) | instid1(VALU_DEP_1)
	s_cmp_lg_u32 s10, 0
	s_addc_u32 s3, s3, s13
	v_readfirstlane_b32 s10, v1
	s_mul_i32 s13, s11, s3
	s_delay_alu instid0(VALU_DEP_1)
	s_mul_hi_u32 s14, s11, s10
	s_mul_i32 s12, s12, s10
	s_add_i32 s13, s14, s13
	s_mul_i32 s11, s11, s10
	s_add_i32 s13, s13, s12
	s_mul_hi_u32 s14, s3, s11
	s_mul_i32 s19, s3, s11
	s_mul_hi_u32 s11, s10, s11
	s_mul_hi_u32 s24, s10, s13
	s_mul_i32 s10, s10, s13
	s_mul_hi_u32 s12, s3, s13
	s_add_u32 s10, s11, s10
	s_addc_u32 s11, 0, s24
	s_add_u32 s10, s10, s19
	s_mul_i32 s13, s3, s13
	s_addc_u32 s10, s11, s14
	s_addc_u32 s11, s12, 0
	s_add_u32 s10, s10, s13
	s_addc_u32 s11, 0, s11
	v_add_co_u32 v1, s10, v1, s10
	s_delay_alu instid0(VALU_DEP_1) | instskip(SKIP_2) | instid1(VALU_DEP_1)
	s_cmp_lg_u32 s10, 0
	s_addc_u32 s3, s3, s11
	s_ashr_i32 s10, s23, 31
	v_readfirstlane_b32 s14, v1
	s_add_u32 s12, s22, s10
	s_mov_b32 s11, s10
	s_addc_u32 s13, s23, s10
	s_delay_alu instid0(SALU_CYCLE_1) | instskip(NEXT) | instid1(SALU_CYCLE_1)
	s_xor_b64 s[12:13], s[12:13], s[10:11]
	s_mul_i32 s24, s12, s3
	s_mul_hi_u32 s25, s12, s14
	s_mul_hi_u32 s19, s12, s3
	s_mul_hi_u32 s27, s13, s14
	s_mul_i32 s14, s13, s14
	s_add_u32 s24, s25, s24
	s_addc_u32 s19, 0, s19
	s_mul_hi_u32 s26, s13, s3
	s_add_u32 s14, s24, s14
	s_mul_i32 s3, s13, s3
	s_addc_u32 s14, s19, s27
	s_addc_u32 s19, s26, 0
	s_add_u32 s3, s14, s3
	s_addc_u32 s14, 0, s19
	s_mul_i32 s26, s8, s3
	s_mul_hi_u32 s19, s8, s3
	s_mul_i32 s25, s8, s14
	v_sub_co_u32 v1, s12, s12, s26
	s_mul_i32 s24, s9, s3
	s_add_i32 s19, s19, s25
	s_delay_alu instid0(SALU_CYCLE_1) | instskip(NEXT) | instid1(VALU_DEP_1)
	s_add_i32 s19, s19, s24
	v_sub_co_u32 v2, s25, v1, s8
	s_sub_i32 s24, s13, s19
	s_cmp_lg_u32 s12, 0
	s_subb_u32 s24, s24, s9
	s_cmp_lg_u32 s25, 0
	v_readfirstlane_b32 s25, v2
	s_subb_u32 s24, s24, 0
	s_delay_alu instid0(SALU_CYCLE_1) | instskip(SKIP_1) | instid1(VALU_DEP_1)
	s_cmp_ge_u32 s24, s9
	s_cselect_b32 s26, -1, 0
	s_cmp_ge_u32 s25, s8
	s_cselect_b32 s25, -1, 0
	s_cmp_eq_u32 s24, s9
	s_cselect_b32 s24, s25, s26
	s_add_u32 s25, s3, 1
	s_addc_u32 s26, s14, 0
	s_add_u32 s27, s3, 2
	s_addc_u32 s28, s14, 0
	s_cmp_lg_u32 s24, 0
	s_cselect_b32 s24, s27, s25
	s_cselect_b32 s25, s28, s26
	s_cmp_lg_u32 s12, 0
	v_readfirstlane_b32 s12, v1
	s_subb_u32 s13, s13, s19
	s_delay_alu instid0(SALU_CYCLE_1) | instskip(SKIP_1) | instid1(VALU_DEP_1)
	s_cmp_ge_u32 s13, s9
	s_cselect_b32 s19, -1, 0
	s_cmp_ge_u32 s12, s8
	s_cselect_b32 s8, -1, 0
	s_cmp_eq_u32 s13, s9
	s_cselect_b32 s8, s8, s19
	s_delay_alu instid0(SALU_CYCLE_1) | instskip(SKIP_3) | instid1(SALU_CYCLE_1)
	s_cmp_lg_u32 s8, 0
	s_cselect_b32 s9, s25, s14
	s_cselect_b32 s8, s24, s3
	s_xor_b64 s[6:7], s[10:11], s[6:7]
	s_xor_b64 s[8:9], s[8:9], s[6:7]
	s_delay_alu instid0(SALU_CYCLE_1)
	s_sub_u32 s24, s8, s6
	s_subb_u32 s25, s9, s7
	v_cvt_f32_u32_e32 v3, s4
	s_and_not1_b32 vcc_lo, exec_lo, s2
	s_cbranch_vccnz .LBB2_3
.LBB2_2:
	s_delay_alu instid0(VALU_DEP_1) | instskip(SKIP_4) | instid1(VALU_DEP_1)
	v_rcp_iflag_f32_e32 v1, v3
	s_sub_i32 s3, 0, s4
	s_mov_b32 s25, 0
	s_waitcnt_depctr 0xfff
	v_mul_f32_e32 v1, 0x4f7ffffe, v1
	v_cvt_u32_f32_e32 v1, v1
	s_delay_alu instid0(VALU_DEP_1) | instskip(NEXT) | instid1(VALU_DEP_1)
	v_readfirstlane_b32 s2, v1
	s_mul_i32 s3, s3, s2
	s_delay_alu instid0(SALU_CYCLE_1) | instskip(NEXT) | instid1(SALU_CYCLE_1)
	s_mul_hi_u32 s3, s2, s3
	s_add_i32 s2, s2, s3
	s_delay_alu instid0(SALU_CYCLE_1) | instskip(NEXT) | instid1(SALU_CYCLE_1)
	s_mul_hi_u32 s2, s22, s2
	s_mul_i32 s3, s2, s4
	s_add_i32 s6, s2, 1
	s_sub_i32 s3, s22, s3
	s_delay_alu instid0(SALU_CYCLE_1)
	s_sub_i32 s7, s3, s4
	s_cmp_ge_u32 s3, s4
	s_cselect_b32 s2, s6, s2
	s_cselect_b32 s3, s7, s3
	s_add_i32 s6, s2, 1
	s_cmp_ge_u32 s3, s4
	s_cselect_b32 s24, s6, s2
.LBB2_3:
	s_delay_alu instid0(SALU_CYCLE_1) | instskip(SKIP_4) | instid1(SALU_CYCLE_1)
	s_mul_i32 s2, s24, s5
	s_mul_hi_u32 s3, s24, s4
	s_mul_i32 s6, s24, s4
	s_add_i32 s2, s3, s2
	s_mul_i32 s3, s25, s4
	s_add_i32 s2, s2, s3
	s_sub_u32 s3, s22, s6
	s_subb_u32 s2, s23, s2
	s_ashr_i32 s12, s16, 31
	s_mul_hi_u32 s7, s3, s16
	s_mul_i32 s6, s3, s12
	s_mul_i32 s2, s2, s16
	s_add_i32 s6, s7, s6
	s_delay_alu instid0(SALU_CYCLE_1) | instskip(SKIP_1) | instid1(SALU_CYCLE_1)
	s_add_i32 s7, s6, s2
	s_mul_i32 s6, s3, s16
	s_or_b64 s[8:9], s[6:7], s[4:5]
	s_mov_b32 s8, 0
	s_delay_alu instid0(SALU_CYCLE_1)
	s_cmp_lg_u64 s[8:9], 0
	s_mov_b32 s9, s16
	s_cbranch_scc0 .LBB2_55
; %bb.4:
	s_add_u32 s2, s4, s5
	s_mov_b32 s10, s5
	s_mov_b32 s11, s5
	s_addc_u32 s3, s5, s5
	s_delay_alu instid0(SALU_CYCLE_1) | instskip(NEXT) | instid1(SALU_CYCLE_1)
	s_xor_b64 s[2:3], s[2:3], s[10:11]
	v_cvt_f32_u32_e32 v1, s2
	v_cvt_f32_u32_e32 v2, s3
	s_sub_u32 s16, 0, s2
	s_subb_u32 s19, 0, s3
	s_delay_alu instid0(VALU_DEP_1) | instskip(NEXT) | instid1(VALU_DEP_1)
	v_fmamk_f32 v1, v2, 0x4f800000, v1
	v_rcp_f32_e32 v1, v1
	s_waitcnt_depctr 0xfff
	v_mul_f32_e32 v1, 0x5f7ffffc, v1
	s_delay_alu instid0(VALU_DEP_1) | instskip(NEXT) | instid1(VALU_DEP_1)
	v_mul_f32_e32 v2, 0x2f800000, v1
	v_trunc_f32_e32 v2, v2
	s_delay_alu instid0(VALU_DEP_1) | instskip(SKIP_1) | instid1(VALU_DEP_2)
	v_fmamk_f32 v1, v2, 0xcf800000, v1
	v_cvt_u32_f32_e32 v2, v2
	v_cvt_u32_f32_e32 v1, v1
	s_delay_alu instid0(VALU_DEP_2) | instskip(NEXT) | instid1(VALU_DEP_2)
	v_readfirstlane_b32 s13, v2
	v_readfirstlane_b32 s14, v1
	s_delay_alu instid0(VALU_DEP_2) | instskip(NEXT) | instid1(VALU_DEP_1)
	s_mul_i32 s26, s16, s13
	s_mul_hi_u32 s28, s16, s14
	s_mul_i32 s27, s19, s14
	s_add_i32 s26, s28, s26
	s_mul_i32 s29, s16, s14
	s_add_i32 s26, s26, s27
	s_mul_hi_u32 s28, s14, s29
	s_mul_hi_u32 s30, s13, s29
	s_mul_i32 s27, s13, s29
	s_mul_hi_u32 s29, s14, s26
	s_mul_i32 s14, s14, s26
	s_mul_hi_u32 s31, s13, s26
	s_add_u32 s14, s28, s14
	s_addc_u32 s28, 0, s29
	s_add_u32 s14, s14, s27
	s_mul_i32 s26, s13, s26
	s_addc_u32 s14, s28, s30
	s_addc_u32 s27, s31, 0
	s_add_u32 s14, s14, s26
	s_addc_u32 s26, 0, s27
	v_add_co_u32 v1, s14, v1, s14
	s_delay_alu instid0(VALU_DEP_1) | instskip(SKIP_1) | instid1(VALU_DEP_1)
	s_cmp_lg_u32 s14, 0
	s_addc_u32 s13, s13, s26
	v_readfirstlane_b32 s14, v1
	s_mul_i32 s26, s16, s13
	s_delay_alu instid0(VALU_DEP_1)
	s_mul_hi_u32 s27, s16, s14
	s_mul_i32 s19, s19, s14
	s_add_i32 s26, s27, s26
	s_mul_i32 s16, s16, s14
	s_add_i32 s26, s26, s19
	s_mul_hi_u32 s27, s13, s16
	s_mul_i32 s28, s13, s16
	s_mul_hi_u32 s16, s14, s16
	s_mul_hi_u32 s29, s14, s26
	s_mul_i32 s14, s14, s26
	s_mul_hi_u32 s19, s13, s26
	s_add_u32 s14, s16, s14
	s_addc_u32 s16, 0, s29
	s_add_u32 s14, s14, s28
	s_mul_i32 s26, s13, s26
	s_addc_u32 s14, s16, s27
	s_addc_u32 s16, s19, 0
	s_add_u32 s14, s14, s26
	s_addc_u32 s16, 0, s16
	v_add_co_u32 v1, s14, v1, s14
	s_delay_alu instid0(VALU_DEP_1) | instskip(SKIP_2) | instid1(VALU_DEP_1)
	s_cmp_lg_u32 s14, 0
	s_addc_u32 s13, s13, s16
	s_ashr_i32 s26, s7, 31
	v_readfirstlane_b32 s14, v1
	s_add_u32 s28, s6, s26
	s_mov_b32 s27, s26
	s_addc_u32 s29, s7, s26
	s_delay_alu instid0(SALU_CYCLE_1) | instskip(NEXT) | instid1(SALU_CYCLE_1)
	s_xor_b64 s[28:29], s[28:29], s[26:27]
	s_mul_i32 s19, s28, s13
	s_mul_hi_u32 s30, s28, s14
	s_mul_hi_u32 s16, s28, s13
	;; [unrolled: 1-line block ×3, first 2 shown]
	s_mul_i32 s14, s29, s14
	s_add_u32 s19, s30, s19
	s_addc_u32 s16, 0, s16
	s_mul_hi_u32 s31, s29, s13
	s_add_u32 s14, s19, s14
	s_mul_i32 s13, s29, s13
	s_addc_u32 s14, s16, s33
	s_addc_u32 s16, s31, 0
	s_add_u32 s13, s14, s13
	s_addc_u32 s14, 0, s16
	s_mul_hi_u32 s16, s2, s13
	s_mul_i32 s14, s2, s14
	s_mul_i32 s30, s2, s13
	;; [unrolled: 1-line block ×3, first 2 shown]
	s_add_i32 s14, s16, s14
	v_sub_co_u32 v1, s16, s28, s30
	s_add_i32 s14, s14, s19
	s_delay_alu instid0(SALU_CYCLE_1) | instskip(SKIP_1) | instid1(VALU_DEP_1)
	s_sub_i32 s19, s29, s14
	s_cmp_lg_u32 s16, 0
	v_sub_co_u32 v2, s28, v1, s2
	s_subb_u32 s19, s19, s3
	s_cmp_lg_u32 s28, 0
	s_subb_u32 s19, s19, 0
	s_delay_alu instid0(VALU_DEP_1)
	v_cmp_le_u32_e32 vcc_lo, s2, v2
	s_cmp_ge_u32 s19, s3
	v_cmp_le_u32_e64 s2, s2, v1
	s_cselect_b32 s28, -1, 0
	s_cmp_eq_u32 s19, s3
	v_cndmask_b32_e64 v2, 0, -1, vcc_lo
	s_cselect_b32 vcc_lo, -1, 0
	s_add_u32 s19, s13, 1
	s_add_u32 s30, s13, 2
	s_cmp_lg_u32 s16, 0
	v_mov_b32_e32 v4, s30
	v_cndmask_b32_e64 v1, 0, -1, s2
	s_subb_u32 s2, s29, s14
	v_cndmask_b32_e32 v2, s28, v2, vcc_lo
	s_cmp_ge_u32 s2, s3
	s_cselect_b32 s14, -1, 0
	s_cmp_eq_u32 s2, s3
	s_cselect_b32 vcc_lo, -1, 0
	s_xor_b64 s[2:3], s[26:27], s[10:11]
	v_cndmask_b32_e32 v1, s14, v1, vcc_lo
	v_cmp_ne_u32_e32 vcc_lo, 0, v2
	v_cndmask_b32_e32 v2, s19, v4, vcc_lo
	s_delay_alu instid0(VALU_DEP_3) | instskip(NEXT) | instid1(VALU_DEP_2)
	v_cmp_ne_u32_e32 vcc_lo, 0, v1
	v_cndmask_b32_e32 v1, s13, v2, vcc_lo
	s_delay_alu instid0(VALU_DEP_1) | instskip(NEXT) | instid1(VALU_DEP_1)
	v_xor_b32_e32 v1, s2, v1
	v_sub_co_u32 v1, vcc_lo, v1, s2
	s_and_not1_b32 vcc_lo, exec_lo, s8
	s_cbranch_vccnz .LBB2_6
.LBB2_5:
	v_rcp_iflag_f32_e32 v1, v3
	s_sub_i32 s2, 0, s4
	s_waitcnt_depctr 0xfff
	v_mul_f32_e32 v1, 0x4f7ffffe, v1
	s_delay_alu instid0(VALU_DEP_1) | instskip(NEXT) | instid1(VALU_DEP_1)
	v_cvt_u32_f32_e32 v1, v1
	v_mul_lo_u32 v2, s2, v1
	s_delay_alu instid0(VALU_DEP_1) | instskip(NEXT) | instid1(VALU_DEP_1)
	v_mul_hi_u32 v2, v1, v2
	v_add_nc_u32_e32 v1, v1, v2
	s_delay_alu instid0(VALU_DEP_1) | instskip(NEXT) | instid1(VALU_DEP_1)
	v_mul_hi_u32 v1, s6, v1
	v_mul_lo_u32 v2, v1, s4
	v_add_nc_u32_e32 v4, 1, v1
	s_delay_alu instid0(VALU_DEP_2) | instskip(NEXT) | instid1(VALU_DEP_1)
	v_sub_nc_u32_e32 v2, s6, v2
	v_subrev_nc_u32_e32 v5, s4, v2
	v_cmp_le_u32_e32 vcc_lo, s4, v2
	s_delay_alu instid0(VALU_DEP_2) | instskip(NEXT) | instid1(VALU_DEP_1)
	v_dual_cndmask_b32 v2, v2, v5 :: v_dual_cndmask_b32 v1, v1, v4
	v_cmp_le_u32_e32 vcc_lo, s4, v2
	s_delay_alu instid0(VALU_DEP_2) | instskip(NEXT) | instid1(VALU_DEP_1)
	v_add_nc_u32_e32 v4, 1, v1
	v_cndmask_b32_e32 v1, v1, v4, vcc_lo
.LBB2_6:
	s_add_u32 s2, s6, s9
	s_addc_u32 s3, s7, s12
	s_add_u32 s6, s2, -1
	s_addc_u32 s7, s3, -1
	s_delay_alu instid0(SALU_CYCLE_1) | instskip(SKIP_1) | instid1(SALU_CYCLE_1)
	s_or_b64 s[8:9], s[6:7], s[4:5]
	s_mov_b32 s8, 0
	s_cmp_lg_u64 s[8:9], 0
	s_cbranch_scc0 .LBB2_56
; %bb.7:
	s_add_u32 s2, s4, s5
	s_mov_b32 s10, s5
	s_mov_b32 s11, s5
	s_addc_u32 s3, s5, s5
	s_delay_alu instid0(SALU_CYCLE_1) | instskip(NEXT) | instid1(SALU_CYCLE_1)
	s_xor_b64 s[2:3], s[2:3], s[10:11]
	v_cvt_f32_u32_e32 v2, s2
	v_cvt_f32_u32_e32 v4, s3
	s_sub_u32 s12, 0, s2
	s_subb_u32 s13, 0, s3
	s_delay_alu instid0(VALU_DEP_1) | instskip(NEXT) | instid1(VALU_DEP_1)
	v_fmamk_f32 v2, v4, 0x4f800000, v2
	v_rcp_f32_e32 v2, v2
	s_waitcnt_depctr 0xfff
	v_mul_f32_e32 v2, 0x5f7ffffc, v2
	s_delay_alu instid0(VALU_DEP_1) | instskip(NEXT) | instid1(VALU_DEP_1)
	v_mul_f32_e32 v4, 0x2f800000, v2
	v_trunc_f32_e32 v4, v4
	s_delay_alu instid0(VALU_DEP_1) | instskip(SKIP_1) | instid1(VALU_DEP_2)
	v_fmamk_f32 v2, v4, 0xcf800000, v2
	v_cvt_u32_f32_e32 v4, v4
	v_cvt_u32_f32_e32 v2, v2
	s_delay_alu instid0(VALU_DEP_2) | instskip(NEXT) | instid1(VALU_DEP_2)
	v_readfirstlane_b32 s5, v4
	v_readfirstlane_b32 s9, v2
	s_delay_alu instid0(VALU_DEP_2) | instskip(NEXT) | instid1(VALU_DEP_1)
	s_mul_i32 s14, s12, s5
	s_mul_hi_u32 s19, s12, s9
	s_mul_i32 s16, s13, s9
	s_add_i32 s14, s19, s14
	s_mul_i32 s26, s12, s9
	s_add_i32 s14, s14, s16
	s_mul_hi_u32 s19, s9, s26
	s_mul_hi_u32 s27, s5, s26
	s_mul_i32 s16, s5, s26
	s_mul_hi_u32 s26, s9, s14
	s_mul_i32 s9, s9, s14
	s_mul_hi_u32 s28, s5, s14
	s_add_u32 s9, s19, s9
	s_addc_u32 s19, 0, s26
	s_add_u32 s9, s9, s16
	s_mul_i32 s14, s5, s14
	s_addc_u32 s9, s19, s27
	s_addc_u32 s16, s28, 0
	s_add_u32 s9, s9, s14
	s_addc_u32 s14, 0, s16
	v_add_co_u32 v2, s9, v2, s9
	s_delay_alu instid0(VALU_DEP_1) | instskip(SKIP_1) | instid1(VALU_DEP_1)
	s_cmp_lg_u32 s9, 0
	s_addc_u32 s5, s5, s14
	v_readfirstlane_b32 s9, v2
	s_mul_i32 s14, s12, s5
	s_delay_alu instid0(VALU_DEP_1)
	s_mul_hi_u32 s16, s12, s9
	s_mul_i32 s13, s13, s9
	s_add_i32 s14, s16, s14
	s_mul_i32 s12, s12, s9
	s_add_i32 s14, s14, s13
	s_mul_hi_u32 s16, s5, s12
	s_mul_i32 s19, s5, s12
	s_mul_hi_u32 s12, s9, s12
	s_mul_hi_u32 s26, s9, s14
	s_mul_i32 s9, s9, s14
	s_mul_hi_u32 s13, s5, s14
	s_add_u32 s9, s12, s9
	s_addc_u32 s12, 0, s26
	s_add_u32 s9, s9, s19
	s_mul_i32 s14, s5, s14
	s_addc_u32 s9, s12, s16
	s_addc_u32 s12, s13, 0
	s_add_u32 s9, s9, s14
	s_addc_u32 s12, 0, s12
	v_add_co_u32 v2, s9, v2, s9
	s_delay_alu instid0(VALU_DEP_1) | instskip(SKIP_2) | instid1(SALU_CYCLE_1)
	s_cmp_lg_u32 s9, 0
	s_addc_u32 s5, s5, s12
	s_ashr_i32 s12, s7, 31
	s_add_u32 s26, s6, s12
	s_addc_u32 s27, s7, s12
	v_readfirstlane_b32 s7, v2
	s_mov_b32 s13, s12
	s_delay_alu instid0(SALU_CYCLE_1) | instskip(NEXT) | instid1(SALU_CYCLE_1)
	s_xor_b64 s[26:27], s[26:27], s[12:13]
	s_mul_i32 s14, s26, s5
	s_delay_alu instid0(VALU_DEP_1)
	s_mul_hi_u32 s16, s26, s7
	s_mul_hi_u32 s9, s26, s5
	;; [unrolled: 1-line block ×3, first 2 shown]
	s_mul_i32 s7, s27, s7
	s_add_u32 s14, s16, s14
	s_addc_u32 s9, 0, s9
	s_mul_hi_u32 s19, s27, s5
	s_add_u32 s7, s14, s7
	s_mul_i32 s5, s27, s5
	s_addc_u32 s7, s9, s28
	s_addc_u32 s9, s19, 0
	s_add_u32 s5, s7, s5
	s_addc_u32 s7, 0, s9
	s_mul_hi_u32 s9, s2, s5
	s_mul_i32 s7, s2, s7
	s_mul_i32 s16, s2, s5
	;; [unrolled: 1-line block ×3, first 2 shown]
	s_add_i32 s7, s9, s7
	v_sub_co_u32 v2, s9, s26, s16
	s_add_i32 s7, s7, s14
	s_delay_alu instid0(SALU_CYCLE_1) | instskip(SKIP_1) | instid1(VALU_DEP_1)
	s_sub_i32 s14, s27, s7
	s_cmp_lg_u32 s9, 0
	v_sub_co_u32 v4, s16, v2, s2
	s_subb_u32 s14, s14, s3
	s_cmp_lg_u32 s16, 0
	s_subb_u32 s14, s14, 0
	s_delay_alu instid0(VALU_DEP_1)
	v_cmp_le_u32_e32 vcc_lo, s2, v4
	s_cmp_ge_u32 s14, s3
	v_cmp_le_u32_e64 s2, s2, v2
	s_cselect_b32 s16, -1, 0
	s_cmp_eq_u32 s14, s3
	v_cndmask_b32_e64 v4, 0, -1, vcc_lo
	s_cselect_b32 vcc_lo, -1, 0
	s_add_u32 s14, s5, 1
	s_add_u32 s19, s5, 2
	s_cmp_lg_u32 s9, 0
	v_mov_b32_e32 v5, s19
	v_cndmask_b32_e64 v2, 0, -1, s2
	s_subb_u32 s2, s27, s7
	v_cndmask_b32_e32 v4, s16, v4, vcc_lo
	s_cmp_ge_u32 s2, s3
	s_cselect_b32 s7, -1, 0
	s_cmp_eq_u32 s2, s3
	s_cselect_b32 vcc_lo, -1, 0
	s_xor_b64 s[2:3], s[12:13], s[10:11]
	v_cndmask_b32_e32 v2, s7, v2, vcc_lo
	v_cmp_ne_u32_e32 vcc_lo, 0, v4
	v_cndmask_b32_e32 v4, s14, v5, vcc_lo
	s_delay_alu instid0(VALU_DEP_3) | instskip(NEXT) | instid1(VALU_DEP_2)
	v_cmp_ne_u32_e32 vcc_lo, 0, v2
	v_cndmask_b32_e32 v2, s5, v4, vcc_lo
	s_delay_alu instid0(VALU_DEP_1) | instskip(NEXT) | instid1(VALU_DEP_1)
	v_xor_b32_e32 v2, s2, v2
	v_sub_co_u32 v4, vcc_lo, v2, s2
	s_load_b32 s36, s[0:1], 0x6c
	s_and_not1_b32 vcc_lo, exec_lo, s8
	s_cbranch_vccnz .LBB2_9
.LBB2_8:
	v_rcp_iflag_f32_e32 v2, v3
	s_sub_i32 s2, 0, s4
	s_waitcnt_depctr 0xfff
	v_mul_f32_e32 v2, 0x4f7ffffe, v2
	s_delay_alu instid0(VALU_DEP_1) | instskip(NEXT) | instid1(VALU_DEP_1)
	v_cvt_u32_f32_e32 v2, v2
	v_mul_lo_u32 v3, s2, v2
	s_delay_alu instid0(VALU_DEP_1) | instskip(NEXT) | instid1(VALU_DEP_1)
	v_mul_hi_u32 v3, v2, v3
	v_add_nc_u32_e32 v2, v2, v3
	s_delay_alu instid0(VALU_DEP_1) | instskip(NEXT) | instid1(VALU_DEP_1)
	v_mul_hi_u32 v2, s6, v2
	v_mul_lo_u32 v3, v2, s4
	v_add_nc_u32_e32 v4, 1, v2
	s_delay_alu instid0(VALU_DEP_2) | instskip(NEXT) | instid1(VALU_DEP_1)
	v_sub_nc_u32_e32 v3, s6, v3
	v_subrev_nc_u32_e32 v5, s4, v3
	v_cmp_le_u32_e32 vcc_lo, s4, v3
	s_delay_alu instid0(VALU_DEP_2) | instskip(NEXT) | instid1(VALU_DEP_1)
	v_dual_cndmask_b32 v3, v3, v5 :: v_dual_cndmask_b32 v2, v2, v4
	v_cmp_le_u32_e32 vcc_lo, s4, v3
	s_delay_alu instid0(VALU_DEP_2) | instskip(NEXT) | instid1(VALU_DEP_1)
	v_add_nc_u32_e32 v4, 1, v2
	v_cndmask_b32_e32 v4, v2, v4, vcc_lo
.LBB2_9:
	v_bfe_u32 v5, v0, 10, 10
	s_waitcnt lgkmcnt(0)
	s_lshr_b32 s33, s36, 16
	s_mov_b32 s2, exec_lo
	s_delay_alu instid0(VALU_DEP_1) | instskip(NEXT) | instid1(VALU_DEP_1)
	v_mad_u64_u32 v[2:3], null, s15, s33, v[5:6]
	v_cmpx_gt_i32_e64 s20, v2
	s_cbranch_execz .LBB2_53
; %bb.10:
	s_clause 0x1
	s_load_b256 s[4:11], s[0:1], 0x28
	s_load_b128 s[12:15], s[0:1], 0x48
	s_bfe_i64 s[26:27], s[24:25], 0x200000
	s_waitcnt lgkmcnt(0)
	s_or_b64 s[2:3], s[26:27], s[4:5]
	s_mov_b32 s2, 0
	s_delay_alu instid0(SALU_CYCLE_1)
	s_cmp_lg_u64 s[2:3], 0
	s_cbranch_scc0 .LBB2_57
; %bb.11:
	s_ashr_i32 s28, s5, 31
	s_delay_alu instid0(SALU_CYCLE_1) | instskip(SKIP_2) | instid1(SALU_CYCLE_1)
	s_add_u32 s30, s4, s28
	s_mov_b32 s29, s28
	s_addc_u32 s31, s5, s28
	s_xor_b64 s[30:31], s[30:31], s[28:29]
	s_delay_alu instid0(SALU_CYCLE_1) | instskip(SKIP_3) | instid1(VALU_DEP_1)
	v_cvt_f32_u32_e32 v3, s30
	v_cvt_f32_u32_e32 v5, s31
	s_sub_u32 s19, 0, s30
	s_subb_u32 s25, 0, s31
	v_fmamk_f32 v3, v5, 0x4f800000, v3
	s_delay_alu instid0(VALU_DEP_1) | instskip(SKIP_2) | instid1(VALU_DEP_1)
	v_rcp_f32_e32 v3, v3
	s_waitcnt_depctr 0xfff
	v_mul_f32_e32 v3, 0x5f7ffffc, v3
	v_mul_f32_e32 v5, 0x2f800000, v3
	s_delay_alu instid0(VALU_DEP_1) | instskip(NEXT) | instid1(VALU_DEP_1)
	v_trunc_f32_e32 v5, v5
	v_fmamk_f32 v3, v5, 0xcf800000, v3
	v_cvt_u32_f32_e32 v5, v5
	s_delay_alu instid0(VALU_DEP_2) | instskip(NEXT) | instid1(VALU_DEP_2)
	v_cvt_u32_f32_e32 v3, v3
	v_readfirstlane_b32 s3, v5
	s_delay_alu instid0(VALU_DEP_2) | instskip(NEXT) | instid1(VALU_DEP_2)
	v_readfirstlane_b32 s16, v3
	s_mul_i32 s34, s19, s3
	s_delay_alu instid0(VALU_DEP_1)
	s_mul_hi_u32 s37, s19, s16
	s_mul_i32 s35, s25, s16
	s_add_i32 s34, s37, s34
	s_mul_i32 s38, s19, s16
	s_add_i32 s34, s34, s35
	s_mul_hi_u32 s37, s16, s38
	s_mul_hi_u32 s39, s3, s38
	s_mul_i32 s35, s3, s38
	s_mul_hi_u32 s38, s16, s34
	s_mul_i32 s16, s16, s34
	s_mul_hi_u32 s40, s3, s34
	s_add_u32 s16, s37, s16
	s_addc_u32 s37, 0, s38
	s_add_u32 s16, s16, s35
	s_mul_i32 s34, s3, s34
	s_addc_u32 s16, s37, s39
	s_addc_u32 s35, s40, 0
	s_add_u32 s16, s16, s34
	s_addc_u32 s34, 0, s35
	v_add_co_u32 v3, s16, v3, s16
	s_delay_alu instid0(VALU_DEP_1) | instskip(SKIP_1) | instid1(VALU_DEP_1)
	s_cmp_lg_u32 s16, 0
	s_addc_u32 s3, s3, s34
	v_readfirstlane_b32 s16, v3
	s_mul_i32 s35, s19, s3
	s_mov_b32 s34, s27
	s_delay_alu instid0(VALU_DEP_1)
	s_mul_hi_u32 s37, s19, s16
	s_mul_i32 s25, s25, s16
	s_add_i32 s35, s37, s35
	s_mul_i32 s19, s19, s16
	s_add_i32 s35, s35, s25
	s_mul_hi_u32 s37, s3, s19
	s_mul_i32 s38, s3, s19
	s_mul_hi_u32 s19, s16, s19
	s_mul_hi_u32 s39, s16, s35
	s_mul_i32 s16, s16, s35
	s_mul_hi_u32 s25, s3, s35
	s_add_u32 s16, s19, s16
	s_addc_u32 s19, 0, s39
	s_add_u32 s16, s16, s38
	s_mul_i32 s35, s3, s35
	s_addc_u32 s16, s19, s37
	s_addc_u32 s19, s25, 0
	s_add_u32 s16, s16, s35
	s_addc_u32 s19, 0, s19
	v_add_co_u32 v3, s16, v3, s16
	s_delay_alu instid0(VALU_DEP_1)
	s_cmp_lg_u32 s16, 0
	s_mov_b32 s35, s27
	s_addc_u32 s3, s3, s19
	s_add_u32 s38, s26, s27
	v_readfirstlane_b32 s16, v3
	s_addc_u32 s39, s27, s27
	s_delay_alu instid0(SALU_CYCLE_1) | instskip(NEXT) | instid1(SALU_CYCLE_1)
	s_xor_b64 s[38:39], s[38:39], s[34:35]
	s_mul_i32 s25, s38, s3
	s_delay_alu instid0(VALU_DEP_1)
	s_mul_hi_u32 s37, s38, s16
	s_mul_hi_u32 s19, s38, s3
	;; [unrolled: 1-line block ×3, first 2 shown]
	s_mul_i32 s16, s39, s16
	s_add_u32 s25, s37, s25
	s_addc_u32 s19, 0, s19
	s_mul_hi_u32 s40, s39, s3
	s_add_u32 s16, s25, s16
	s_mul_i32 s3, s39, s3
	s_addc_u32 s16, s19, s41
	s_addc_u32 s19, s40, 0
	s_add_u32 s3, s16, s3
	s_addc_u32 s16, 0, s19
	s_mul_hi_u32 s19, s30, s3
	s_mul_i32 s37, s30, s16
	s_mul_i32 s40, s30, s3
	s_add_i32 s19, s19, s37
	v_sub_co_u32 v3, s37, s38, s40
	s_mul_i32 s25, s31, s3
	s_delay_alu instid0(SALU_CYCLE_1) | instskip(NEXT) | instid1(VALU_DEP_1)
	s_add_i32 s19, s19, s25
	v_sub_co_u32 v5, s38, v3, s30
	s_sub_i32 s25, s39, s19
	s_cmp_lg_u32 s37, 0
	s_subb_u32 s25, s25, s31
	s_cmp_lg_u32 s38, 0
	v_readfirstlane_b32 s38, v5
	s_subb_u32 s25, s25, 0
	s_delay_alu instid0(SALU_CYCLE_1) | instskip(SKIP_1) | instid1(VALU_DEP_1)
	s_cmp_ge_u32 s25, s31
	s_cselect_b32 s40, -1, 0
	s_cmp_ge_u32 s38, s30
	s_cselect_b32 s38, -1, 0
	s_cmp_eq_u32 s25, s31
	s_cselect_b32 s25, s38, s40
	s_add_u32 s38, s3, 1
	s_addc_u32 s40, s16, 0
	s_add_u32 s41, s3, 2
	s_addc_u32 s42, s16, 0
	s_cmp_lg_u32 s25, 0
	s_cselect_b32 s25, s41, s38
	s_cselect_b32 s38, s42, s40
	s_cmp_lg_u32 s37, 0
	v_readfirstlane_b32 s37, v3
	s_subb_u32 s19, s39, s19
	s_delay_alu instid0(SALU_CYCLE_1) | instskip(SKIP_1) | instid1(VALU_DEP_1)
	s_cmp_ge_u32 s19, s31
	s_cselect_b32 s39, -1, 0
	s_cmp_ge_u32 s37, s30
	s_cselect_b32 s30, -1, 0
	s_cmp_eq_u32 s19, s31
	s_cselect_b32 s19, s30, s39
	s_delay_alu instid0(SALU_CYCLE_1) | instskip(SKIP_3) | instid1(SALU_CYCLE_1)
	s_cmp_lg_u32 s19, 0
	s_cselect_b32 s31, s38, s16
	s_cselect_b32 s30, s25, s3
	s_xor_b64 s[28:29], s[34:35], s[28:29]
	s_xor_b64 s[30:31], s[30:31], s[28:29]
	s_delay_alu instid0(SALU_CYCLE_1)
	s_sub_u32 s28, s30, s28
	s_subb_u32 s29, s31, s29
	s_load_b32 s31, s[0:1], 0x64
	s_and_not1_b32 vcc_lo, exec_lo, s2
	s_cbranch_vccnz .LBB2_13
.LBB2_12:
	v_cvt_f32_u32_e32 v3, s4
	s_sub_i32 s3, 0, s4
	s_mov_b32 s29, 0
	s_delay_alu instid0(VALU_DEP_1) | instskip(SKIP_2) | instid1(VALU_DEP_1)
	v_rcp_iflag_f32_e32 v3, v3
	s_waitcnt_depctr 0xfff
	v_mul_f32_e32 v3, 0x4f7ffffe, v3
	v_cvt_u32_f32_e32 v3, v3
	s_delay_alu instid0(VALU_DEP_1) | instskip(NEXT) | instid1(VALU_DEP_1)
	v_readfirstlane_b32 s2, v3
	s_mul_i32 s3, s3, s2
	s_delay_alu instid0(SALU_CYCLE_1) | instskip(NEXT) | instid1(SALU_CYCLE_1)
	s_mul_hi_u32 s3, s2, s3
	s_add_i32 s2, s2, s3
	s_delay_alu instid0(SALU_CYCLE_1) | instskip(NEXT) | instid1(SALU_CYCLE_1)
	s_mul_hi_u32 s2, s24, s2
	s_mul_i32 s3, s2, s4
	s_add_i32 s16, s2, 1
	s_sub_i32 s3, s24, s3
	s_delay_alu instid0(SALU_CYCLE_1)
	s_sub_i32 s19, s3, s4
	s_cmp_ge_u32 s3, s4
	s_cselect_b32 s2, s16, s2
	s_cselect_b32 s3, s19, s3
	s_add_i32 s16, s2, 1
	s_cmp_ge_u32 s3, s4
	s_cselect_b32 s28, s16, s2
.LBB2_13:
	s_load_b128 s[0:3], s[0:1], 0x0
	s_mul_i32 s25, s21, s20
	s_mul_hi_i32 s24, s21, s20
	s_mul_i32 s30, s28, s5
	s_mul_i32 s5, s25, s23
	s_mul_hi_u32 s23, s25, s22
	s_mul_i32 s24, s24, s22
	s_add_i32 s5, s23, s5
	s_mul_i32 s22, s25, s22
	s_add_i32 s23, s5, s24
	s_mul_hi_u32 s34, s28, s4
	s_mul_i32 s35, s29, s4
	s_mul_i32 s25, s28, s4
	s_lshl_b64 s[4:5], s[22:23], 1
	s_ashr_i32 s16, s20, 31
	s_ashr_i32 s19, s21, 31
	s_mul_i32 s7, s28, s7
	v_sub_nc_u32_e32 v8, v4, v1
	v_and_b32_e32 v0, 0x3ff, v0
	s_waitcnt lgkmcnt(0)
	s_mul_i32 s31, s31, s33
	s_add_u32 s22, s2, s4
	s_addc_u32 s23, s3, s5
	s_add_i32 s2, s34, s30
	s_and_b32 s24, s36, 0xffff
	s_add_i32 s2, s2, s35
	s_sub_u32 s4, s26, s25
	s_subb_u32 s5, s27, s2
	s_mul_hi_u32 s27, s28, s6
	s_bfe_i64 s[2:3], s[28:29], 0x200000
	s_add_i32 s2, s27, s7
	s_mul_i32 s3, s3, s6
	s_mul_i32 s7, s4, s9
	s_mul_hi_u32 s9, s4, s8
	s_add_i32 s3, s2, s3
	s_mul_i32 s2, s28, s6
	s_add_i32 s7, s9, s7
	s_mul_i32 s5, s5, s8
	s_lshl_b64 s[2:3], s[2:3], 1
	s_ashr_i32 s25, s17, 31
	s_ashr_i32 s26, s18, 31
	s_add_i32 s5, s7, s5
	s_mul_i32 s4, s4, s8
	s_add_u32 s2, s0, s2
	s_addc_u32 s3, s1, s3
	s_lshl_b64 s[0:1], s[4:5], 1
	s_mov_b32 s8, s20
	s_add_u32 s9, s2, s0
	s_addc_u32 s27, s3, s1
	s_ashr_i32 s28, s20, 31
	v_cvt_f32_u32_e32 v5, s8
	s_add_i32 s0, s20, s28
	v_mov_b32_e32 v4, 0
	s_xor_b32 s29, s0, s28
	s_sub_i32 s1, 0, s20
	v_cvt_f32_u32_e32 v3, s29
	v_rcp_iflag_f32_e32 v5, v5
	s_sub_i32 s0, 0, s29
	s_mov_b32 s30, s21
	v_add_nc_u32_e32 v12, 1, v8
	v_rcp_iflag_f32_e32 v3, v3
	s_mov_b32 s33, 0
	s_delay_alu instid0(VALU_DEP_1) | instskip(SKIP_3) | instid1(VALU_DEP_2)
	v_max_i32_e32 v13, 1, v12
	s_waitcnt_depctr 0xfff
	v_mul_f32_e32 v5, 0x4f7ffffe, v5
	v_mul_f32_e32 v3, 0x4f7ffffe, v3
	v_cvt_u32_f32_e32 v5, v5
	s_delay_alu instid0(VALU_DEP_2) | instskip(NEXT) | instid1(VALU_DEP_2)
	v_cvt_u32_f32_e32 v3, v3
	v_mul_lo_u32 v7, s1, v5
	v_cmp_gt_u32_e64 s1, 0x7fffffff, v8
	s_delay_alu instid0(VALU_DEP_3) | instskip(SKIP_1) | instid1(VALU_DEP_4)
	v_mul_lo_u32 v6, s0, v3
	v_cmp_gt_i32_e64 s0, s21, v0
	v_mul_hi_u32 v7, v5, v7
	s_delay_alu instid0(VALU_DEP_3) | instskip(NEXT) | instid1(VALU_DEP_2)
	v_mul_hi_u32 v6, v3, v6
	v_add_nc_u32_e32 v15, v5, v7
	s_delay_alu instid0(VALU_DEP_2)
	v_add_nc_u32_e32 v14, v3, v6
	s_branch .LBB2_15
.LBB2_14:                               ;   in Loop: Header=BB2_15 Depth=1
	s_or_b32 exec_lo, exec_lo, s34
	v_add_nc_u32_e32 v2, s31, v2
	s_delay_alu instid0(VALU_DEP_1) | instskip(SKIP_1) | instid1(SALU_CYCLE_1)
	v_cmp_le_i32_e32 vcc_lo, s20, v2
	s_or_b32 s33, vcc_lo, s33
	s_and_not1_b32 exec_lo, exec_lo, s33
	s_cbranch_execz .LBB2_53
.LBB2_15:                               ; =>This Loop Header: Depth=1
                                        ;     Child Loop BB2_30 Depth 2
                                        ;       Child Loop BB2_46 Depth 3
                                        ;         Child Loop BB2_49 Depth 4
                                        ;           Child Loop BB2_51 Depth 5
	v_ashrrev_i32_e32 v10, 31, v2
	v_mov_b32_e32 v5, v4
	s_mov_b32 s2, exec_lo
                                        ; implicit-def: $vgpr7_vgpr8
	s_delay_alu instid0(VALU_DEP_2) | instskip(NEXT) | instid1(VALU_DEP_1)
	v_or_b32_e32 v6, s16, v10
	v_cmpx_ne_u64_e32 0, v[5:6]
	s_xor_b32 s2, exec_lo, s2
	s_cbranch_execz .LBB2_17
; %bb.16:                               ;   in Loop: Header=BB2_15 Depth=1
	v_ashrrev_i32_e32 v3, 31, v2
	s_delay_alu instid0(VALU_DEP_1) | instskip(NEXT) | instid1(VALU_DEP_1)
	v_add_nc_u32_e32 v5, v2, v3
	v_xor_b32_e32 v5, v5, v3
	v_xor_b32_e32 v3, s28, v3
	s_delay_alu instid0(VALU_DEP_2) | instskip(NEXT) | instid1(VALU_DEP_1)
	v_mul_hi_u32 v6, v5, v14
	v_mul_lo_u32 v7, v6, s29
	s_delay_alu instid0(VALU_DEP_1) | instskip(SKIP_1) | instid1(VALU_DEP_2)
	v_sub_nc_u32_e32 v5, v5, v7
	v_add_nc_u32_e32 v7, 1, v6
	v_subrev_nc_u32_e32 v8, s29, v5
	v_cmp_le_u32_e32 vcc_lo, s29, v5
	s_delay_alu instid0(VALU_DEP_2) | instskip(NEXT) | instid1(VALU_DEP_1)
	v_dual_cndmask_b32 v5, v5, v8 :: v_dual_cndmask_b32 v6, v6, v7
	v_cmp_le_u32_e32 vcc_lo, s29, v5
	s_delay_alu instid0(VALU_DEP_2) | instskip(NEXT) | instid1(VALU_DEP_1)
	v_add_nc_u32_e32 v7, 1, v6
	v_cndmask_b32_e32 v5, v6, v7, vcc_lo
	s_delay_alu instid0(VALU_DEP_1) | instskip(NEXT) | instid1(VALU_DEP_1)
	v_xor_b32_e32 v5, v5, v3
	v_sub_nc_u32_e32 v7, v5, v3
	s_delay_alu instid0(VALU_DEP_1)
	v_ashrrev_i32_e32 v8, 31, v7
.LBB2_17:                               ;   in Loop: Header=BB2_15 Depth=1
	s_and_not1_saveexec_b32 s2, s2
	s_cbranch_execz .LBB2_19
; %bb.18:                               ;   in Loop: Header=BB2_15 Depth=1
	v_mul_hi_u32 v3, v2, v15
	s_delay_alu instid0(VALU_DEP_1) | instskip(SKIP_1) | instid1(VALU_DEP_2)
	v_mul_lo_u32 v5, v3, s8
	v_add_nc_u32_e32 v6, 1, v3
	v_sub_nc_u32_e32 v5, v2, v5
	s_delay_alu instid0(VALU_DEP_1) | instskip(SKIP_1) | instid1(VALU_DEP_2)
	v_subrev_nc_u32_e32 v7, s8, v5
	v_cmp_le_u32_e32 vcc_lo, s8, v5
	v_cndmask_b32_e32 v5, v5, v7, vcc_lo
	v_cndmask_b32_e32 v3, v3, v6, vcc_lo
	s_delay_alu instid0(VALU_DEP_2) | instskip(NEXT) | instid1(VALU_DEP_2)
	v_cmp_le_u32_e32 vcc_lo, s8, v5
	v_add_nc_u32_e32 v6, 1, v3
	s_delay_alu instid0(VALU_DEP_1) | instskip(NEXT) | instid1(VALU_DEP_1)
	v_cndmask_b32_e32 v3, v3, v6, vcc_lo
	v_dual_mov_b32 v8, v4 :: v_dual_mov_b32 v7, v3
.LBB2_19:                               ;   in Loop: Header=BB2_15 Depth=1
	s_or_b32 exec_lo, exec_lo, s2
	s_delay_alu instid0(VALU_DEP_1) | instskip(NEXT) | instid1(VALU_DEP_2)
	v_mul_lo_u32 v3, v8, s8
	v_mul_lo_u32 v8, v7, s16
	v_mad_u64_u32 v[5:6], null, v7, s8, 0
	s_delay_alu instid0(VALU_DEP_1) | instskip(NEXT) | instid1(VALU_DEP_2)
	v_add3_u32 v3, v6, v8, v3
	v_sub_co_u32 v8, vcc_lo, v2, v5
	s_delay_alu instid0(VALU_DEP_2) | instskip(NEXT) | instid1(VALU_DEP_2)
	v_sub_co_ci_u32_e32 v3, vcc_lo, v10, v3, vcc_lo
	v_mul_lo_u32 v9, v8, s25
	v_mad_u64_u32 v[5:6], null, v8, s17, 0
	s_delay_alu instid0(VALU_DEP_3) | instskip(SKIP_1) | instid1(VALU_DEP_2)
	v_mul_lo_u32 v3, v3, s17
	v_mov_b32_e32 v8, v4
	v_add3_u32 v6, v6, v9, v3
	s_delay_alu instid0(VALU_DEP_1) | instskip(NEXT) | instid1(VALU_DEP_1)
	v_or_b32_e32 v9, s16, v6
	v_cmp_ne_u64_e32 vcc_lo, 0, v[8:9]
                                        ; implicit-def: $vgpr8_vgpr9
	s_and_saveexec_b32 s2, vcc_lo
	s_delay_alu instid0(SALU_CYCLE_1)
	s_xor_b32 s3, exec_lo, s2
	s_cbranch_execz .LBB2_21
; %bb.20:                               ;   in Loop: Header=BB2_15 Depth=1
	s_add_u32 s6, s8, s16
	s_mov_b32 s4, s16
	s_mov_b32 s5, s16
	s_addc_u32 s7, s16, s16
	s_delay_alu instid0(SALU_CYCLE_1) | instskip(NEXT) | instid1(SALU_CYCLE_1)
	s_xor_b64 s[6:7], s[6:7], s[4:5]
	v_cvt_f32_u32_e32 v3, s6
	v_cvt_f32_u32_e32 v8, s7
	s_sub_u32 s2, 0, s6
	s_subb_u32 s5, 0, s7
	s_delay_alu instid0(VALU_DEP_1) | instskip(NEXT) | instid1(VALU_DEP_1)
	v_fmac_f32_e32 v3, 0x4f800000, v8
	v_rcp_f32_e32 v3, v3
	s_waitcnt_depctr 0xfff
	v_mul_f32_e32 v3, 0x5f7ffffc, v3
	s_delay_alu instid0(VALU_DEP_1) | instskip(NEXT) | instid1(VALU_DEP_1)
	v_mul_f32_e32 v8, 0x2f800000, v3
	v_trunc_f32_e32 v8, v8
	s_delay_alu instid0(VALU_DEP_1) | instskip(SKIP_1) | instid1(VALU_DEP_2)
	v_fmac_f32_e32 v3, 0xcf800000, v8
	v_cvt_u32_f32_e32 v8, v8
	v_cvt_u32_f32_e32 v3, v3
	s_delay_alu instid0(VALU_DEP_2) | instskip(NEXT) | instid1(VALU_DEP_2)
	v_mul_lo_u32 v9, s2, v8
	v_mul_hi_u32 v11, s2, v3
	v_mul_lo_u32 v16, s5, v3
	s_delay_alu instid0(VALU_DEP_2) | instskip(SKIP_1) | instid1(VALU_DEP_2)
	v_add_nc_u32_e32 v9, v11, v9
	v_mul_lo_u32 v11, s2, v3
	v_add_nc_u32_e32 v9, v9, v16
	s_delay_alu instid0(VALU_DEP_2) | instskip(NEXT) | instid1(VALU_DEP_2)
	v_mul_hi_u32 v16, v3, v11
	v_mul_lo_u32 v17, v3, v9
	v_mul_hi_u32 v18, v3, v9
	v_mul_hi_u32 v19, v8, v11
	v_mul_lo_u32 v11, v8, v11
	v_mul_hi_u32 v20, v8, v9
	v_mul_lo_u32 v9, v8, v9
	v_add_co_u32 v16, vcc_lo, v16, v17
	v_add_co_ci_u32_e32 v17, vcc_lo, 0, v18, vcc_lo
	s_delay_alu instid0(VALU_DEP_2) | instskip(NEXT) | instid1(VALU_DEP_2)
	v_add_co_u32 v11, vcc_lo, v16, v11
	v_add_co_ci_u32_e32 v11, vcc_lo, v17, v19, vcc_lo
	v_add_co_ci_u32_e32 v16, vcc_lo, 0, v20, vcc_lo
	v_ashrrev_i32_e32 v19, 31, v6
	s_delay_alu instid0(VALU_DEP_3) | instskip(NEXT) | instid1(VALU_DEP_3)
	v_add_co_u32 v9, vcc_lo, v11, v9
	v_add_co_ci_u32_e32 v11, vcc_lo, 0, v16, vcc_lo
	s_delay_alu instid0(VALU_DEP_2) | instskip(NEXT) | instid1(VALU_DEP_2)
	v_add_co_u32 v3, vcc_lo, v3, v9
	v_add_co_ci_u32_e32 v8, vcc_lo, v8, v11, vcc_lo
	s_delay_alu instid0(VALU_DEP_2) | instskip(SKIP_1) | instid1(VALU_DEP_3)
	v_mul_hi_u32 v9, s2, v3
	v_mul_lo_u32 v16, s5, v3
	v_mul_lo_u32 v11, s2, v8
	s_delay_alu instid0(VALU_DEP_1) | instskip(SKIP_1) | instid1(VALU_DEP_2)
	v_add_nc_u32_e32 v9, v9, v11
	v_mul_lo_u32 v11, s2, v3
	v_add_nc_u32_e32 v9, v9, v16
	s_delay_alu instid0(VALU_DEP_2) | instskip(NEXT) | instid1(VALU_DEP_2)
	v_mul_hi_u32 v16, v3, v11
	v_mul_lo_u32 v17, v3, v9
	v_mul_hi_u32 v18, v3, v9
	v_mul_hi_u32 v20, v8, v11
	v_mul_lo_u32 v11, v8, v11
	v_mul_hi_u32 v21, v8, v9
	v_mul_lo_u32 v9, v8, v9
	v_add_co_u32 v16, vcc_lo, v16, v17
	v_add_co_ci_u32_e32 v17, vcc_lo, 0, v18, vcc_lo
	s_delay_alu instid0(VALU_DEP_2) | instskip(NEXT) | instid1(VALU_DEP_2)
	v_add_co_u32 v11, vcc_lo, v16, v11
	v_add_co_ci_u32_e32 v11, vcc_lo, v17, v20, vcc_lo
	v_add_co_ci_u32_e32 v16, vcc_lo, 0, v21, vcc_lo
	v_add_co_u32 v5, vcc_lo, v5, v19
	v_add_co_ci_u32_e32 v6, vcc_lo, v6, v19, vcc_lo
	s_delay_alu instid0(VALU_DEP_4) | instskip(NEXT) | instid1(VALU_DEP_4)
	v_add_co_u32 v9, vcc_lo, v11, v9
	v_add_co_ci_u32_e32 v11, vcc_lo, 0, v16, vcc_lo
	s_delay_alu instid0(VALU_DEP_4) | instskip(NEXT) | instid1(VALU_DEP_3)
	v_xor_b32_e32 v18, v5, v19
	v_add_co_u32 v3, vcc_lo, v3, v9
	s_delay_alu instid0(VALU_DEP_3) | instskip(SKIP_1) | instid1(VALU_DEP_3)
	v_add_co_ci_u32_e32 v11, vcc_lo, v8, v11, vcc_lo
	v_xor_b32_e32 v20, v6, v19
	v_mul_hi_u32 v21, v18, v3
	s_delay_alu instid0(VALU_DEP_3) | instskip(NEXT) | instid1(VALU_DEP_3)
	v_mad_u64_u32 v[5:6], null, v18, v11, 0
	v_mad_u64_u32 v[8:9], null, v20, v3, 0
	v_mad_u64_u32 v[16:17], null, v20, v11, 0
	s_delay_alu instid0(VALU_DEP_3) | instskip(NEXT) | instid1(VALU_DEP_4)
	v_add_co_u32 v3, vcc_lo, v21, v5
	v_add_co_ci_u32_e32 v5, vcc_lo, 0, v6, vcc_lo
	s_delay_alu instid0(VALU_DEP_2) | instskip(NEXT) | instid1(VALU_DEP_2)
	v_add_co_u32 v3, vcc_lo, v3, v8
	v_add_co_ci_u32_e32 v3, vcc_lo, v5, v9, vcc_lo
	v_add_co_ci_u32_e32 v5, vcc_lo, 0, v17, vcc_lo
	s_delay_alu instid0(VALU_DEP_2) | instskip(NEXT) | instid1(VALU_DEP_2)
	v_add_co_u32 v3, vcc_lo, v3, v16
	v_add_co_ci_u32_e32 v8, vcc_lo, 0, v5, vcc_lo
	s_delay_alu instid0(VALU_DEP_2) | instskip(SKIP_1) | instid1(VALU_DEP_3)
	v_mul_lo_u32 v9, s7, v3
	v_mad_u64_u32 v[5:6], null, s6, v3, 0
	v_mul_lo_u32 v8, s6, v8
	s_delay_alu instid0(VALU_DEP_2) | instskip(NEXT) | instid1(VALU_DEP_2)
	v_sub_co_u32 v5, vcc_lo, v18, v5
	v_add3_u32 v6, v6, v8, v9
	v_add_co_u32 v9, s2, v3, 2
	s_delay_alu instid0(VALU_DEP_2) | instskip(NEXT) | instid1(VALU_DEP_1)
	v_sub_nc_u32_e32 v8, v20, v6
	v_subrev_co_ci_u32_e64 v8, s2, s7, v8, vcc_lo
	v_sub_co_u32 v11, s2, v5, s6
	v_sub_co_ci_u32_e32 v6, vcc_lo, v20, v6, vcc_lo
	s_delay_alu instid0(VALU_DEP_3) | instskip(NEXT) | instid1(VALU_DEP_3)
	v_subrev_co_ci_u32_e64 v8, s2, 0, v8, s2
	v_cmp_le_u32_e32 vcc_lo, s6, v11
	v_cndmask_b32_e64 v11, 0, -1, vcc_lo
	s_delay_alu instid0(VALU_DEP_3)
	v_cmp_le_u32_e32 vcc_lo, s7, v8
	v_cndmask_b32_e64 v16, 0, -1, vcc_lo
	v_cmp_le_u32_e32 vcc_lo, s6, v5
	v_cndmask_b32_e64 v5, 0, -1, vcc_lo
	;; [unrolled: 2-line block ×3, first 2 shown]
	v_cmp_eq_u32_e32 vcc_lo, s7, v8
	v_cndmask_b32_e32 v8, v16, v11, vcc_lo
	v_add_co_u32 v11, vcc_lo, v3, 1
	v_cmp_eq_u32_e32 vcc_lo, s7, v6
	v_cndmask_b32_e32 v5, v17, v5, vcc_lo
	s_delay_alu instid0(VALU_DEP_4) | instskip(NEXT) | instid1(VALU_DEP_4)
	v_cmp_ne_u32_e32 vcc_lo, 0, v8
	v_cndmask_b32_e32 v6, v11, v9, vcc_lo
	s_delay_alu instid0(VALU_DEP_3) | instskip(SKIP_1) | instid1(VALU_DEP_3)
	v_cmp_ne_u32_e32 vcc_lo, 0, v5
	v_xor_b32_e32 v5, s4, v19
	v_cndmask_b32_e32 v3, v3, v6, vcc_lo
	s_delay_alu instid0(VALU_DEP_1) | instskip(NEXT) | instid1(VALU_DEP_1)
	v_xor_b32_e32 v3, v3, v5
	v_sub_co_u32 v8, vcc_lo, v3, v5
                                        ; implicit-def: $vgpr5_vgpr6
.LBB2_21:                               ;   in Loop: Header=BB2_15 Depth=1
	s_and_not1_saveexec_b32 s2, s3
; %bb.22:                               ;   in Loop: Header=BB2_15 Depth=1
	v_mul_hi_u32 v3, v5, v15
	s_delay_alu instid0(VALU_DEP_1) | instskip(NEXT) | instid1(VALU_DEP_1)
	v_mul_lo_u32 v6, v3, s8
	v_sub_nc_u32_e32 v5, v5, v6
	s_delay_alu instid0(VALU_DEP_1) | instskip(SKIP_1) | instid1(VALU_DEP_2)
	v_subrev_nc_u32_e32 v8, s8, v5
	v_cmp_le_u32_e32 vcc_lo, s8, v5
	v_dual_cndmask_b32 v5, v5, v8 :: v_dual_add_nc_u32 v6, 1, v3
	s_delay_alu instid0(VALU_DEP_1) | instskip(NEXT) | instid1(VALU_DEP_2)
	v_cndmask_b32_e32 v3, v3, v6, vcc_lo
	v_cmp_le_u32_e32 vcc_lo, s8, v5
	s_delay_alu instid0(VALU_DEP_2) | instskip(NEXT) | instid1(VALU_DEP_1)
	v_add_nc_u32_e32 v6, 1, v3
	v_cndmask_b32_e32 v8, v3, v6, vcc_lo
; %bb.23:                               ;   in Loop: Header=BB2_15 Depth=1
	s_or_b32 exec_lo, exec_lo, s2
	v_add_co_u32 v3, vcc_lo, v2, 1
	v_add_co_ci_u32_e32 v5, vcc_lo, 0, v10, vcc_lo
	s_delay_alu instid0(VALU_DEP_2) | instskip(NEXT) | instid1(VALU_DEP_2)
	v_mul_lo_u32 v9, v3, s25
	v_mul_lo_u32 v10, v5, s17
	v_mad_u64_u32 v[5:6], null, v3, s17, -1
	s_delay_alu instid0(VALU_DEP_1) | instskip(SKIP_1) | instid1(VALU_DEP_2)
	v_add3_u32 v6, v10, v6, v9
	v_mov_b32_e32 v9, v4
	v_or_b32_e32 v10, s16, v6
	s_delay_alu instid0(VALU_DEP_1) | instskip(SKIP_1) | instid1(SALU_CYCLE_1)
	v_cmp_ne_u64_e32 vcc_lo, 0, v[9:10]
                                        ; implicit-def: $vgpr9_vgpr10
	s_and_saveexec_b32 s2, vcc_lo
	s_xor_b32 s3, exec_lo, s2
	s_cbranch_execnz .LBB2_26
; %bb.24:                               ;   in Loop: Header=BB2_15 Depth=1
	s_and_not1_saveexec_b32 s2, s3
	s_cbranch_execnz .LBB2_27
.LBB2_25:                               ;   in Loop: Header=BB2_15 Depth=1
	s_or_b32 exec_lo, exec_lo, s2
	s_and_saveexec_b32 s34, s0
	s_cbranch_execz .LBB2_14
	s_branch .LBB2_28
.LBB2_26:                               ;   in Loop: Header=BB2_15 Depth=1
	s_add_u32 s6, s8, s16
	s_mov_b32 s4, s16
	s_mov_b32 s5, s16
	s_addc_u32 s7, s16, s16
	s_delay_alu instid0(SALU_CYCLE_1) | instskip(NEXT) | instid1(SALU_CYCLE_1)
	s_xor_b64 s[6:7], s[6:7], s[4:5]
	v_cvt_f32_u32_e32 v3, s6
	v_cvt_f32_u32_e32 v9, s7
	s_sub_u32 s2, 0, s6
	s_subb_u32 s5, 0, s7
	s_delay_alu instid0(VALU_DEP_1) | instskip(NEXT) | instid1(VALU_DEP_1)
	v_fmac_f32_e32 v3, 0x4f800000, v9
	v_rcp_f32_e32 v3, v3
	s_waitcnt_depctr 0xfff
	v_mul_f32_e32 v3, 0x5f7ffffc, v3
	s_delay_alu instid0(VALU_DEP_1) | instskip(NEXT) | instid1(VALU_DEP_1)
	v_mul_f32_e32 v9, 0x2f800000, v3
	v_trunc_f32_e32 v9, v9
	s_delay_alu instid0(VALU_DEP_1) | instskip(SKIP_1) | instid1(VALU_DEP_2)
	v_fmac_f32_e32 v3, 0xcf800000, v9
	v_cvt_u32_f32_e32 v9, v9
	v_cvt_u32_f32_e32 v3, v3
	s_delay_alu instid0(VALU_DEP_2) | instskip(NEXT) | instid1(VALU_DEP_2)
	v_mul_lo_u32 v10, s2, v9
	v_mul_hi_u32 v11, s2, v3
	v_mul_lo_u32 v16, s5, v3
	s_delay_alu instid0(VALU_DEP_2) | instskip(SKIP_1) | instid1(VALU_DEP_2)
	v_add_nc_u32_e32 v10, v11, v10
	v_mul_lo_u32 v11, s2, v3
	v_add_nc_u32_e32 v10, v10, v16
	s_delay_alu instid0(VALU_DEP_2) | instskip(NEXT) | instid1(VALU_DEP_2)
	v_mul_hi_u32 v16, v3, v11
	v_mul_lo_u32 v17, v3, v10
	v_mul_hi_u32 v18, v3, v10
	v_mul_hi_u32 v19, v9, v11
	v_mul_lo_u32 v11, v9, v11
	v_mul_hi_u32 v20, v9, v10
	v_mul_lo_u32 v10, v9, v10
	v_add_co_u32 v16, vcc_lo, v16, v17
	v_add_co_ci_u32_e32 v17, vcc_lo, 0, v18, vcc_lo
	s_delay_alu instid0(VALU_DEP_2) | instskip(NEXT) | instid1(VALU_DEP_2)
	v_add_co_u32 v11, vcc_lo, v16, v11
	v_add_co_ci_u32_e32 v11, vcc_lo, v17, v19, vcc_lo
	v_add_co_ci_u32_e32 v16, vcc_lo, 0, v20, vcc_lo
	v_ashrrev_i32_e32 v19, 31, v6
	s_delay_alu instid0(VALU_DEP_3) | instskip(NEXT) | instid1(VALU_DEP_3)
	v_add_co_u32 v10, vcc_lo, v11, v10
	v_add_co_ci_u32_e32 v11, vcc_lo, 0, v16, vcc_lo
	s_delay_alu instid0(VALU_DEP_2) | instskip(NEXT) | instid1(VALU_DEP_2)
	v_add_co_u32 v3, vcc_lo, v3, v10
	v_add_co_ci_u32_e32 v9, vcc_lo, v9, v11, vcc_lo
	s_delay_alu instid0(VALU_DEP_2) | instskip(SKIP_1) | instid1(VALU_DEP_3)
	v_mul_hi_u32 v10, s2, v3
	v_mul_lo_u32 v16, s5, v3
	v_mul_lo_u32 v11, s2, v9
	s_delay_alu instid0(VALU_DEP_1) | instskip(SKIP_1) | instid1(VALU_DEP_2)
	v_add_nc_u32_e32 v10, v10, v11
	v_mul_lo_u32 v11, s2, v3
	v_add_nc_u32_e32 v10, v10, v16
	s_delay_alu instid0(VALU_DEP_2) | instskip(NEXT) | instid1(VALU_DEP_2)
	v_mul_hi_u32 v16, v3, v11
	v_mul_lo_u32 v17, v3, v10
	v_mul_hi_u32 v18, v3, v10
	v_mul_hi_u32 v20, v9, v11
	v_mul_lo_u32 v11, v9, v11
	v_mul_hi_u32 v21, v9, v10
	v_mul_lo_u32 v10, v9, v10
	v_add_co_u32 v16, vcc_lo, v16, v17
	v_add_co_ci_u32_e32 v17, vcc_lo, 0, v18, vcc_lo
	s_delay_alu instid0(VALU_DEP_2) | instskip(NEXT) | instid1(VALU_DEP_2)
	v_add_co_u32 v11, vcc_lo, v16, v11
	v_add_co_ci_u32_e32 v11, vcc_lo, v17, v20, vcc_lo
	v_add_co_ci_u32_e32 v16, vcc_lo, 0, v21, vcc_lo
	v_add_co_u32 v5, vcc_lo, v5, v19
	v_add_co_ci_u32_e32 v6, vcc_lo, v6, v19, vcc_lo
	s_delay_alu instid0(VALU_DEP_4) | instskip(NEXT) | instid1(VALU_DEP_4)
	v_add_co_u32 v10, vcc_lo, v11, v10
	v_add_co_ci_u32_e32 v11, vcc_lo, 0, v16, vcc_lo
	s_delay_alu instid0(VALU_DEP_4) | instskip(NEXT) | instid1(VALU_DEP_3)
	v_xor_b32_e32 v18, v5, v19
	v_add_co_u32 v3, vcc_lo, v3, v10
	s_delay_alu instid0(VALU_DEP_3) | instskip(SKIP_1) | instid1(VALU_DEP_3)
	v_add_co_ci_u32_e32 v11, vcc_lo, v9, v11, vcc_lo
	v_xor_b32_e32 v20, v6, v19
	v_mul_hi_u32 v21, v18, v3
	s_delay_alu instid0(VALU_DEP_3) | instskip(NEXT) | instid1(VALU_DEP_3)
	v_mad_u64_u32 v[5:6], null, v18, v11, 0
	v_mad_u64_u32 v[9:10], null, v20, v3, 0
	;; [unrolled: 1-line block ×3, first 2 shown]
	s_delay_alu instid0(VALU_DEP_3) | instskip(NEXT) | instid1(VALU_DEP_4)
	v_add_co_u32 v3, vcc_lo, v21, v5
	v_add_co_ci_u32_e32 v5, vcc_lo, 0, v6, vcc_lo
	s_delay_alu instid0(VALU_DEP_2) | instskip(NEXT) | instid1(VALU_DEP_2)
	v_add_co_u32 v3, vcc_lo, v3, v9
	v_add_co_ci_u32_e32 v3, vcc_lo, v5, v10, vcc_lo
	v_add_co_ci_u32_e32 v5, vcc_lo, 0, v17, vcc_lo
	s_delay_alu instid0(VALU_DEP_2) | instskip(NEXT) | instid1(VALU_DEP_2)
	v_add_co_u32 v3, vcc_lo, v3, v16
	v_add_co_ci_u32_e32 v9, vcc_lo, 0, v5, vcc_lo
	s_delay_alu instid0(VALU_DEP_2) | instskip(SKIP_1) | instid1(VALU_DEP_3)
	v_mul_lo_u32 v10, s7, v3
	v_mad_u64_u32 v[5:6], null, s6, v3, 0
	v_mul_lo_u32 v9, s6, v9
	s_delay_alu instid0(VALU_DEP_2) | instskip(NEXT) | instid1(VALU_DEP_2)
	v_sub_co_u32 v5, vcc_lo, v18, v5
	v_add3_u32 v6, v6, v9, v10
	v_add_co_u32 v10, s2, v3, 2
	s_delay_alu instid0(VALU_DEP_2) | instskip(NEXT) | instid1(VALU_DEP_1)
	v_sub_nc_u32_e32 v9, v20, v6
	v_subrev_co_ci_u32_e64 v9, s2, s7, v9, vcc_lo
	v_sub_co_u32 v11, s2, v5, s6
	v_sub_co_ci_u32_e32 v6, vcc_lo, v20, v6, vcc_lo
	s_delay_alu instid0(VALU_DEP_3) | instskip(NEXT) | instid1(VALU_DEP_3)
	v_subrev_co_ci_u32_e64 v9, s2, 0, v9, s2
	v_cmp_le_u32_e32 vcc_lo, s6, v11
	v_cndmask_b32_e64 v11, 0, -1, vcc_lo
	s_delay_alu instid0(VALU_DEP_3)
	v_cmp_le_u32_e32 vcc_lo, s7, v9
	v_cndmask_b32_e64 v16, 0, -1, vcc_lo
	v_cmp_le_u32_e32 vcc_lo, s6, v5
	v_cndmask_b32_e64 v5, 0, -1, vcc_lo
	;; [unrolled: 2-line block ×3, first 2 shown]
	v_cmp_eq_u32_e32 vcc_lo, s7, v9
	v_cndmask_b32_e32 v9, v16, v11, vcc_lo
	v_add_co_u32 v11, vcc_lo, v3, 1
	v_cmp_eq_u32_e32 vcc_lo, s7, v6
	v_cndmask_b32_e32 v5, v17, v5, vcc_lo
	s_delay_alu instid0(VALU_DEP_4) | instskip(NEXT) | instid1(VALU_DEP_4)
	v_cmp_ne_u32_e32 vcc_lo, 0, v9
	v_cndmask_b32_e32 v6, v11, v10, vcc_lo
	s_delay_alu instid0(VALU_DEP_3) | instskip(SKIP_1) | instid1(VALU_DEP_3)
	v_cmp_ne_u32_e32 vcc_lo, 0, v5
	v_xor_b32_e32 v5, s4, v19
	v_cndmask_b32_e32 v3, v3, v6, vcc_lo
	s_delay_alu instid0(VALU_DEP_1) | instskip(NEXT) | instid1(VALU_DEP_1)
	v_xor_b32_e32 v3, v3, v5
	v_sub_co_u32 v9, vcc_lo, v3, v5
                                        ; implicit-def: $vgpr5_vgpr6
	s_and_not1_saveexec_b32 s2, s3
	s_cbranch_execz .LBB2_25
.LBB2_27:                               ;   in Loop: Header=BB2_15 Depth=1
	v_mul_hi_u32 v3, v5, v15
	s_delay_alu instid0(VALU_DEP_1) | instskip(NEXT) | instid1(VALU_DEP_1)
	v_mul_lo_u32 v6, v3, s8
	v_sub_nc_u32_e32 v5, v5, v6
	s_delay_alu instid0(VALU_DEP_1) | instskip(SKIP_1) | instid1(VALU_DEP_2)
	v_subrev_nc_u32_e32 v9, s8, v5
	v_cmp_le_u32_e32 vcc_lo, s8, v5
	v_dual_cndmask_b32 v5, v5, v9 :: v_dual_add_nc_u32 v6, 1, v3
	s_delay_alu instid0(VALU_DEP_1) | instskip(NEXT) | instid1(VALU_DEP_2)
	v_cndmask_b32_e32 v3, v3, v6, vcc_lo
	v_cmp_le_u32_e32 vcc_lo, s8, v5
	s_delay_alu instid0(VALU_DEP_2) | instskip(NEXT) | instid1(VALU_DEP_1)
	v_add_nc_u32_e32 v6, 1, v3
	v_cndmask_b32_e32 v9, v3, v6, vcc_lo
	s_or_b32 exec_lo, exec_lo, s2
	s_and_saveexec_b32 s34, s0
	s_cbranch_execz .LBB2_14
.LBB2_28:                               ;   in Loop: Header=BB2_15 Depth=1
	s_delay_alu instid0(VALU_DEP_1) | instskip(SKIP_2) | instid1(VALU_DEP_2)
	v_mad_u64_u32 v[5:6], null, v7, s17, v[8:9]
	v_mul_lo_u32 v6, v2, s21
	s_mov_b32 s35, 0
	v_sub_nc_u32_e32 v3, v9, v5
	s_delay_alu instid0(VALU_DEP_2) | instskip(NEXT) | instid1(VALU_DEP_2)
	v_ashrrev_i32_e32 v7, 31, v6
	v_dual_mov_b32 v3, v0 :: v_dual_add_nc_u32 v16, 1, v3
	s_delay_alu instid0(VALU_DEP_2) | instskip(NEXT) | instid1(VALU_DEP_2)
	v_lshlrev_b64 v[6:7], 1, v[6:7]
	v_mul_lo_u32 v17, v16, v12
	v_cmp_lt_i32_e64 s2, 0, v16
	s_delay_alu instid0(VALU_DEP_3) | instskip(NEXT) | instid1(VALU_DEP_4)
	v_add_co_u32 v18, vcc_lo, s22, v6
	v_add_co_ci_u32_e32 v19, vcc_lo, s23, v7, vcc_lo
	s_branch .LBB2_30
.LBB2_29:                               ;   in Loop: Header=BB2_30 Depth=2
	s_delay_alu instid0(VALU_DEP_1) | instskip(NEXT) | instid1(VALU_DEP_1)
	v_mul_lo_u32 v7, v17, v7
	v_cvt_f32_i32_e32 v9, v7
	s_delay_alu instid0(VALU_DEP_1) | instskip(SKIP_1) | instid1(VALU_DEP_2)
	v_div_scale_f32 v7, null, v9, v9, v6
	v_div_scale_f32 v11, vcc_lo, v6, v9, v6
	v_rcp_f32_e32 v10, v7
	s_waitcnt_depctr 0xfff
	v_fma_f32 v8, -v7, v10, 1.0
	s_delay_alu instid0(VALU_DEP_1) | instskip(NEXT) | instid1(VALU_DEP_1)
	v_fmac_f32_e32 v10, v8, v10
	v_mul_f32_e32 v20, v11, v10
	s_delay_alu instid0(VALU_DEP_1) | instskip(NEXT) | instid1(VALU_DEP_1)
	v_fma_f32 v8, -v7, v20, v11
	v_fmac_f32_e32 v20, v8, v10
	s_delay_alu instid0(VALU_DEP_1) | instskip(SKIP_2) | instid1(VALU_DEP_3)
	v_fma_f32 v11, -v7, v20, v11
	v_lshlrev_b64 v[7:8], 1, v[3:4]
	v_add_nc_u32_e32 v3, s24, v3
	v_div_fmas_f32 v10, v11, v10, v20
	s_delay_alu instid0(VALU_DEP_2) | instskip(NEXT) | instid1(VALU_DEP_2)
	v_cmp_le_i32_e32 vcc_lo, s21, v3
	v_div_fixup_f32 v9, v10, v9, v6
	v_add_co_u32 v6, s3, v18, v7
	s_delay_alu instid0(VALU_DEP_1) | instskip(NEXT) | instid1(VALU_DEP_3)
	v_add_co_ci_u32_e64 v7, s3, v19, v8, s3
	v_cvt_f16_f32_e32 v8, v9
	s_or_b32 s35, vcc_lo, s35
	global_store_b16 v[6:7], v8, off
	s_and_not1_b32 exec_lo, exec_lo, s35
	s_cbranch_execz .LBB2_14
.LBB2_30:                               ;   Parent Loop BB2_15 Depth=1
                                        ; =>  This Loop Header: Depth=2
                                        ;       Child Loop BB2_46 Depth 3
                                        ;         Child Loop BB2_49 Depth 4
                                        ;           Child Loop BB2_51 Depth 5
	v_or_b32_e64 v7, 0, s19
	v_mov_b32_e32 v6, v4
	s_delay_alu instid0(VALU_DEP_1) | instskip(SKIP_1) | instid1(SALU_CYCLE_1)
	v_cmp_ne_u64_e32 vcc_lo, 0, v[6:7]
                                        ; implicit-def: $vgpr6_vgpr7
	s_and_saveexec_b32 s3, vcc_lo
	s_xor_b32 s36, exec_lo, s3
	s_cbranch_execz .LBB2_32
; %bb.31:                               ;   in Loop: Header=BB2_30 Depth=2
	s_add_u32 s6, s30, s19
	s_mov_b32 s4, s19
	s_mov_b32 s5, s19
	s_addc_u32 s7, s19, s19
	s_delay_alu instid0(SALU_CYCLE_1) | instskip(NEXT) | instid1(SALU_CYCLE_1)
	s_xor_b64 s[6:7], s[6:7], s[4:5]
	v_cvt_f32_u32_e32 v6, s6
	v_cvt_f32_u32_e32 v7, s7
	s_sub_u32 s3, 0, s6
	s_subb_u32 s37, 0, s7
	s_delay_alu instid0(VALU_DEP_1) | instskip(NEXT) | instid1(VALU_DEP_1)
	v_fmac_f32_e32 v6, 0x4f800000, v7
	v_rcp_f32_e32 v6, v6
	s_waitcnt_depctr 0xfff
	v_mul_f32_e32 v6, 0x5f7ffffc, v6
	s_delay_alu instid0(VALU_DEP_1) | instskip(NEXT) | instid1(VALU_DEP_1)
	v_mul_f32_e32 v7, 0x2f800000, v6
	v_trunc_f32_e32 v7, v7
	s_delay_alu instid0(VALU_DEP_1) | instskip(SKIP_1) | instid1(VALU_DEP_2)
	v_fmac_f32_e32 v6, 0xcf800000, v7
	v_cvt_u32_f32_e32 v7, v7
	v_cvt_u32_f32_e32 v6, v6
	s_delay_alu instid0(VALU_DEP_2) | instskip(NEXT) | instid1(VALU_DEP_2)
	v_mul_lo_u32 v8, s3, v7
	v_mul_hi_u32 v9, s3, v6
	v_mul_lo_u32 v10, s37, v6
	s_delay_alu instid0(VALU_DEP_2) | instskip(SKIP_1) | instid1(VALU_DEP_2)
	v_add_nc_u32_e32 v8, v9, v8
	v_mul_lo_u32 v9, s3, v6
	v_add_nc_u32_e32 v8, v8, v10
	s_delay_alu instid0(VALU_DEP_2) | instskip(NEXT) | instid1(VALU_DEP_2)
	v_mul_hi_u32 v10, v6, v9
	v_mul_lo_u32 v11, v6, v8
	v_mul_hi_u32 v20, v6, v8
	v_mul_hi_u32 v21, v7, v9
	v_mul_lo_u32 v9, v7, v9
	v_mul_hi_u32 v22, v7, v8
	v_mul_lo_u32 v8, v7, v8
	v_add_co_u32 v10, vcc_lo, v10, v11
	v_add_co_ci_u32_e32 v11, vcc_lo, 0, v20, vcc_lo
	s_delay_alu instid0(VALU_DEP_2) | instskip(NEXT) | instid1(VALU_DEP_2)
	v_add_co_u32 v9, vcc_lo, v10, v9
	v_add_co_ci_u32_e32 v9, vcc_lo, v11, v21, vcc_lo
	v_add_co_ci_u32_e32 v10, vcc_lo, 0, v22, vcc_lo
	v_ashrrev_i32_e64 v21, 31, 0
	s_delay_alu instid0(VALU_DEP_3) | instskip(NEXT) | instid1(VALU_DEP_3)
	v_add_co_u32 v8, vcc_lo, v9, v8
	v_add_co_ci_u32_e32 v9, vcc_lo, 0, v10, vcc_lo
	s_delay_alu instid0(VALU_DEP_2) | instskip(NEXT) | instid1(VALU_DEP_2)
	v_add_co_u32 v6, vcc_lo, v6, v8
	v_add_co_ci_u32_e32 v7, vcc_lo, v7, v9, vcc_lo
	s_delay_alu instid0(VALU_DEP_2) | instskip(SKIP_1) | instid1(VALU_DEP_3)
	v_mul_hi_u32 v8, s3, v6
	v_mul_lo_u32 v10, s37, v6
	v_mul_lo_u32 v9, s3, v7
	s_delay_alu instid0(VALU_DEP_1) | instskip(SKIP_1) | instid1(VALU_DEP_2)
	v_add_nc_u32_e32 v8, v8, v9
	v_mul_lo_u32 v9, s3, v6
	v_add_nc_u32_e32 v8, v8, v10
	s_delay_alu instid0(VALU_DEP_2) | instskip(NEXT) | instid1(VALU_DEP_2)
	v_mul_hi_u32 v10, v6, v9
	v_mul_lo_u32 v11, v6, v8
	v_mul_hi_u32 v20, v6, v8
	v_mul_hi_u32 v22, v7, v9
	v_mul_lo_u32 v9, v7, v9
	v_mul_hi_u32 v23, v7, v8
	v_mul_lo_u32 v8, v7, v8
	v_add_co_u32 v10, vcc_lo, v10, v11
	v_add_co_ci_u32_e32 v11, vcc_lo, 0, v20, vcc_lo
	s_delay_alu instid0(VALU_DEP_2) | instskip(NEXT) | instid1(VALU_DEP_2)
	v_add_co_u32 v9, vcc_lo, v10, v9
	v_add_co_ci_u32_e32 v9, vcc_lo, v11, v22, vcc_lo
	v_add_co_ci_u32_e32 v10, vcc_lo, 0, v23, vcc_lo
	v_add_co_u32 v11, vcc_lo, v3, v21
	v_add_co_ci_u32_e32 v20, vcc_lo, 0, v21, vcc_lo
	s_delay_alu instid0(VALU_DEP_4) | instskip(NEXT) | instid1(VALU_DEP_4)
	v_add_co_u32 v8, vcc_lo, v9, v8
	v_add_co_ci_u32_e32 v9, vcc_lo, 0, v10, vcc_lo
	s_delay_alu instid0(VALU_DEP_4) | instskip(NEXT) | instid1(VALU_DEP_3)
	v_xor_b32_e32 v22, v11, v21
	v_add_co_u32 v10, vcc_lo, v6, v8
	s_delay_alu instid0(VALU_DEP_3) | instskip(SKIP_1) | instid1(VALU_DEP_3)
	v_add_co_ci_u32_e32 v23, vcc_lo, v7, v9, vcc_lo
	v_xor_b32_e32 v20, v20, v21
	v_mul_hi_u32 v24, v22, v10
	s_delay_alu instid0(VALU_DEP_3) | instskip(NEXT) | instid1(VALU_DEP_3)
	v_mad_u64_u32 v[6:7], null, v22, v23, 0
	v_mad_u64_u32 v[8:9], null, v20, v10, 0
	;; [unrolled: 1-line block ×3, first 2 shown]
	s_delay_alu instid0(VALU_DEP_3) | instskip(NEXT) | instid1(VALU_DEP_4)
	v_add_co_u32 v6, vcc_lo, v24, v6
	v_add_co_ci_u32_e32 v7, vcc_lo, 0, v7, vcc_lo
	s_delay_alu instid0(VALU_DEP_2) | instskip(NEXT) | instid1(VALU_DEP_2)
	v_add_co_u32 v6, vcc_lo, v6, v8
	v_add_co_ci_u32_e32 v6, vcc_lo, v7, v9, vcc_lo
	v_add_co_ci_u32_e32 v7, vcc_lo, 0, v11, vcc_lo
	s_delay_alu instid0(VALU_DEP_2) | instskip(NEXT) | instid1(VALU_DEP_2)
	v_add_co_u32 v8, vcc_lo, v6, v10
	v_add_co_ci_u32_e32 v9, vcc_lo, 0, v7, vcc_lo
	s_delay_alu instid0(VALU_DEP_2) | instskip(SKIP_1) | instid1(VALU_DEP_3)
	v_mul_lo_u32 v10, s7, v8
	v_mad_u64_u32 v[6:7], null, s6, v8, 0
	v_mul_lo_u32 v11, s6, v9
	s_delay_alu instid0(VALU_DEP_2) | instskip(NEXT) | instid1(VALU_DEP_2)
	v_sub_co_u32 v6, vcc_lo, v22, v6
	v_add3_u32 v7, v7, v11, v10
	s_delay_alu instid0(VALU_DEP_1) | instskip(NEXT) | instid1(VALU_DEP_1)
	v_sub_nc_u32_e32 v10, v20, v7
	v_subrev_co_ci_u32_e64 v10, s3, s7, v10, vcc_lo
	v_add_co_u32 v11, s3, v8, 2
	s_delay_alu instid0(VALU_DEP_1) | instskip(SKIP_3) | instid1(VALU_DEP_3)
	v_add_co_ci_u32_e64 v22, s3, 0, v9, s3
	v_sub_co_u32 v23, s3, v6, s6
	v_sub_co_ci_u32_e32 v7, vcc_lo, v20, v7, vcc_lo
	v_subrev_co_ci_u32_e64 v10, s3, 0, v10, s3
	v_cmp_le_u32_e32 vcc_lo, s6, v23
	s_delay_alu instid0(VALU_DEP_3) | instskip(SKIP_1) | instid1(VALU_DEP_4)
	v_cmp_eq_u32_e64 s3, s7, v7
	v_cndmask_b32_e64 v20, 0, -1, vcc_lo
	v_cmp_le_u32_e32 vcc_lo, s7, v10
	v_cndmask_b32_e64 v23, 0, -1, vcc_lo
	v_cmp_le_u32_e32 vcc_lo, s6, v6
	;; [unrolled: 2-line block ×3, first 2 shown]
	v_cndmask_b32_e64 v24, 0, -1, vcc_lo
	v_cmp_eq_u32_e32 vcc_lo, s7, v10
	s_delay_alu instid0(VALU_DEP_2) | instskip(SKIP_3) | instid1(VALU_DEP_3)
	v_cndmask_b32_e64 v6, v24, v6, s3
	v_cndmask_b32_e32 v10, v23, v20, vcc_lo
	v_add_co_u32 v20, vcc_lo, v8, 1
	v_add_co_ci_u32_e32 v23, vcc_lo, 0, v9, vcc_lo
	v_cmp_ne_u32_e32 vcc_lo, 0, v10
	s_delay_alu instid0(VALU_DEP_2) | instskip(SKIP_2) | instid1(VALU_DEP_3)
	v_dual_cndmask_b32 v7, v23, v22 :: v_dual_cndmask_b32 v10, v20, v11
	v_cmp_ne_u32_e32 vcc_lo, 0, v6
	v_xor_b32_e32 v6, s4, v21
	v_dual_cndmask_b32 v8, v8, v10 :: v_dual_cndmask_b32 v7, v9, v7
	v_xor_b32_e32 v9, s5, v21
	s_delay_alu instid0(VALU_DEP_2) | instskip(NEXT) | instid1(VALU_DEP_2)
	v_xor_b32_e32 v8, v8, v6
	v_xor_b32_e32 v7, v7, v9
	s_delay_alu instid0(VALU_DEP_2) | instskip(NEXT) | instid1(VALU_DEP_2)
	v_sub_co_u32 v6, vcc_lo, v8, v6
	v_sub_co_ci_u32_e32 v7, vcc_lo, v7, v9, vcc_lo
.LBB2_32:                               ;   in Loop: Header=BB2_30 Depth=2
	s_or_saveexec_b32 s3, s36
	v_cvt_f32_u32_e32 v20, s30
	s_xor_b32 exec_lo, exec_lo, s3
	s_cbranch_execz .LBB2_34
; %bb.33:                               ;   in Loop: Header=BB2_30 Depth=2
	s_delay_alu instid0(VALU_DEP_1) | instskip(SKIP_3) | instid1(VALU_DEP_1)
	v_rcp_iflag_f32_e32 v6, v20
	s_sub_i32 s4, 0, s30
	s_waitcnt_depctr 0xfff
	v_mul_f32_e32 v6, 0x4f7ffffe, v6
	v_cvt_u32_f32_e32 v6, v6
	s_delay_alu instid0(VALU_DEP_1) | instskip(NEXT) | instid1(VALU_DEP_1)
	v_mul_lo_u32 v7, s4, v6
	v_mul_hi_u32 v7, v6, v7
	s_delay_alu instid0(VALU_DEP_1) | instskip(NEXT) | instid1(VALU_DEP_1)
	v_add_nc_u32_e32 v6, v6, v7
	v_mul_hi_u32 v6, v3, v6
	s_delay_alu instid0(VALU_DEP_1) | instskip(SKIP_1) | instid1(VALU_DEP_2)
	v_mul_lo_u32 v7, v6, s30
	v_add_nc_u32_e32 v8, 1, v6
	v_sub_nc_u32_e32 v7, v3, v7
	s_delay_alu instid0(VALU_DEP_1) | instskip(SKIP_1) | instid1(VALU_DEP_2)
	v_subrev_nc_u32_e32 v9, s30, v7
	v_cmp_le_u32_e32 vcc_lo, s30, v7
	v_dual_cndmask_b32 v7, v7, v9 :: v_dual_cndmask_b32 v6, v6, v8
	s_delay_alu instid0(VALU_DEP_1) | instskip(NEXT) | instid1(VALU_DEP_2)
	v_cmp_le_u32_e32 vcc_lo, s30, v7
	v_dual_mov_b32 v7, v4 :: v_dual_add_nc_u32 v8, 1, v6
	s_delay_alu instid0(VALU_DEP_1)
	v_cndmask_b32_e32 v6, v6, v8, vcc_lo
.LBB2_34:                               ;   in Loop: Header=BB2_30 Depth=2
	s_or_b32 exec_lo, exec_lo, s3
	s_delay_alu instid0(VALU_DEP_2) | instskip(NEXT) | instid1(VALU_DEP_2)
	v_mul_lo_u32 v9, v7, s30
	v_mul_lo_u32 v10, v6, s19
	v_mad_u64_u32 v[7:8], null, v6, s30, 0
	s_delay_alu instid0(VALU_DEP_1) | instskip(NEXT) | instid1(VALU_DEP_2)
	v_add3_u32 v8, v8, v10, v9
	v_sub_co_u32 v7, vcc_lo, v3, v7
	s_delay_alu instid0(VALU_DEP_2) | instskip(NEXT) | instid1(VALU_DEP_2)
	v_sub_co_ci_u32_e32 v8, vcc_lo, 0, v8, vcc_lo
	v_mul_lo_u32 v11, v7, s26
	v_mad_u64_u32 v[9:10], null, v7, s18, 0
	s_delay_alu instid0(VALU_DEP_3) | instskip(NEXT) | instid1(VALU_DEP_1)
	v_mul_lo_u32 v7, v8, s18
	v_add3_u32 v10, v10, v11, v7
	v_mov_b32_e32 v7, v4
	s_delay_alu instid0(VALU_DEP_2) | instskip(NEXT) | instid1(VALU_DEP_1)
	v_or_b32_e32 v8, s19, v10
	v_cmp_ne_u64_e32 vcc_lo, 0, v[7:8]
                                        ; implicit-def: $vgpr7_vgpr8
	s_and_saveexec_b32 s3, vcc_lo
	s_delay_alu instid0(SALU_CYCLE_1)
	s_xor_b32 s36, exec_lo, s3
	s_cbranch_execz .LBB2_36
; %bb.35:                               ;   in Loop: Header=BB2_30 Depth=2
	s_add_u32 s6, s30, s19
	s_mov_b32 s4, s19
	s_mov_b32 s5, s19
	s_addc_u32 s7, s19, s19
	s_delay_alu instid0(SALU_CYCLE_1) | instskip(NEXT) | instid1(SALU_CYCLE_1)
	s_xor_b64 s[6:7], s[6:7], s[4:5]
	v_cvt_f32_u32_e32 v7, s6
	v_cvt_f32_u32_e32 v8, s7
	s_sub_u32 s3, 0, s6
	s_subb_u32 s5, 0, s7
	s_delay_alu instid0(VALU_DEP_1) | instskip(NEXT) | instid1(VALU_DEP_1)
	v_fmac_f32_e32 v7, 0x4f800000, v8
	v_rcp_f32_e32 v7, v7
	s_waitcnt_depctr 0xfff
	v_mul_f32_e32 v7, 0x5f7ffffc, v7
	s_delay_alu instid0(VALU_DEP_1) | instskip(NEXT) | instid1(VALU_DEP_1)
	v_mul_f32_e32 v8, 0x2f800000, v7
	v_trunc_f32_e32 v8, v8
	s_delay_alu instid0(VALU_DEP_1) | instskip(SKIP_1) | instid1(VALU_DEP_2)
	v_fmac_f32_e32 v7, 0xcf800000, v8
	v_cvt_u32_f32_e32 v8, v8
	v_cvt_u32_f32_e32 v7, v7
	s_delay_alu instid0(VALU_DEP_2) | instskip(NEXT) | instid1(VALU_DEP_2)
	v_mul_lo_u32 v11, s3, v8
	v_mul_hi_u32 v21, s3, v7
	v_mul_lo_u32 v22, s5, v7
	s_delay_alu instid0(VALU_DEP_2) | instskip(SKIP_1) | instid1(VALU_DEP_2)
	v_add_nc_u32_e32 v11, v21, v11
	v_mul_lo_u32 v21, s3, v7
	v_add_nc_u32_e32 v11, v11, v22
	s_delay_alu instid0(VALU_DEP_2) | instskip(NEXT) | instid1(VALU_DEP_2)
	v_mul_hi_u32 v22, v7, v21
	v_mul_lo_u32 v23, v7, v11
	v_mul_hi_u32 v24, v7, v11
	v_mul_hi_u32 v25, v8, v21
	v_mul_lo_u32 v21, v8, v21
	v_mul_hi_u32 v26, v8, v11
	v_mul_lo_u32 v11, v8, v11
	v_add_co_u32 v22, vcc_lo, v22, v23
	v_add_co_ci_u32_e32 v23, vcc_lo, 0, v24, vcc_lo
	s_delay_alu instid0(VALU_DEP_2) | instskip(NEXT) | instid1(VALU_DEP_2)
	v_add_co_u32 v21, vcc_lo, v22, v21
	v_add_co_ci_u32_e32 v21, vcc_lo, v23, v25, vcc_lo
	v_add_co_ci_u32_e32 v22, vcc_lo, 0, v26, vcc_lo
	v_ashrrev_i32_e32 v25, 31, v10
	s_delay_alu instid0(VALU_DEP_3) | instskip(NEXT) | instid1(VALU_DEP_3)
	v_add_co_u32 v11, vcc_lo, v21, v11
	v_add_co_ci_u32_e32 v21, vcc_lo, 0, v22, vcc_lo
	s_delay_alu instid0(VALU_DEP_2) | instskip(NEXT) | instid1(VALU_DEP_2)
	v_add_co_u32 v7, vcc_lo, v7, v11
	v_add_co_ci_u32_e32 v8, vcc_lo, v8, v21, vcc_lo
	s_delay_alu instid0(VALU_DEP_2) | instskip(SKIP_1) | instid1(VALU_DEP_3)
	v_mul_hi_u32 v11, s3, v7
	v_mul_lo_u32 v22, s5, v7
	v_mul_lo_u32 v21, s3, v8
	s_delay_alu instid0(VALU_DEP_1) | instskip(SKIP_1) | instid1(VALU_DEP_2)
	v_add_nc_u32_e32 v11, v11, v21
	v_mul_lo_u32 v21, s3, v7
	v_add_nc_u32_e32 v11, v11, v22
	s_delay_alu instid0(VALU_DEP_2) | instskip(NEXT) | instid1(VALU_DEP_2)
	v_mul_hi_u32 v22, v7, v21
	v_mul_lo_u32 v23, v7, v11
	v_mul_hi_u32 v24, v7, v11
	v_mul_hi_u32 v26, v8, v21
	v_mul_lo_u32 v21, v8, v21
	v_mul_hi_u32 v27, v8, v11
	v_mul_lo_u32 v11, v8, v11
	v_add_co_u32 v22, vcc_lo, v22, v23
	v_add_co_ci_u32_e32 v23, vcc_lo, 0, v24, vcc_lo
	s_delay_alu instid0(VALU_DEP_2) | instskip(NEXT) | instid1(VALU_DEP_2)
	v_add_co_u32 v21, vcc_lo, v22, v21
	v_add_co_ci_u32_e32 v21, vcc_lo, v23, v26, vcc_lo
	v_add_co_ci_u32_e32 v22, vcc_lo, 0, v27, vcc_lo
	v_add_co_u32 v9, vcc_lo, v9, v25
	v_add_co_ci_u32_e32 v10, vcc_lo, v10, v25, vcc_lo
	s_delay_alu instid0(VALU_DEP_4) | instskip(NEXT) | instid1(VALU_DEP_4)
	v_add_co_u32 v11, vcc_lo, v21, v11
	v_add_co_ci_u32_e32 v21, vcc_lo, 0, v22, vcc_lo
	s_delay_alu instid0(VALU_DEP_4) | instskip(NEXT) | instid1(VALU_DEP_3)
	v_xor_b32_e32 v23, v9, v25
	v_add_co_u32 v11, vcc_lo, v7, v11
	s_delay_alu instid0(VALU_DEP_3) | instskip(SKIP_1) | instid1(VALU_DEP_3)
	v_add_co_ci_u32_e32 v24, vcc_lo, v8, v21, vcc_lo
	v_xor_b32_e32 v26, v10, v25
	v_mul_hi_u32 v27, v23, v11
	s_delay_alu instid0(VALU_DEP_3) | instskip(NEXT) | instid1(VALU_DEP_3)
	v_mad_u64_u32 v[7:8], null, v23, v24, 0
	v_mad_u64_u32 v[9:10], null, v26, v11, 0
	;; [unrolled: 1-line block ×3, first 2 shown]
	s_delay_alu instid0(VALU_DEP_3) | instskip(NEXT) | instid1(VALU_DEP_4)
	v_add_co_u32 v7, vcc_lo, v27, v7
	v_add_co_ci_u32_e32 v8, vcc_lo, 0, v8, vcc_lo
	s_delay_alu instid0(VALU_DEP_2) | instskip(NEXT) | instid1(VALU_DEP_2)
	v_add_co_u32 v7, vcc_lo, v7, v9
	v_add_co_ci_u32_e32 v7, vcc_lo, v8, v10, vcc_lo
	v_add_co_ci_u32_e32 v8, vcc_lo, 0, v22, vcc_lo
	s_delay_alu instid0(VALU_DEP_2) | instskip(NEXT) | instid1(VALU_DEP_2)
	v_add_co_u32 v9, vcc_lo, v7, v21
	v_add_co_ci_u32_e32 v10, vcc_lo, 0, v8, vcc_lo
	s_delay_alu instid0(VALU_DEP_2) | instskip(SKIP_1) | instid1(VALU_DEP_3)
	v_mul_lo_u32 v11, s7, v9
	v_mad_u64_u32 v[7:8], null, s6, v9, 0
	v_mul_lo_u32 v10, s6, v10
	s_delay_alu instid0(VALU_DEP_2) | instskip(NEXT) | instid1(VALU_DEP_2)
	v_sub_co_u32 v7, vcc_lo, v23, v7
	v_add3_u32 v8, v8, v10, v11
	v_add_co_u32 v11, s3, v9, 2
	s_delay_alu instid0(VALU_DEP_2) | instskip(NEXT) | instid1(VALU_DEP_1)
	v_sub_nc_u32_e32 v10, v26, v8
	v_subrev_co_ci_u32_e64 v10, s3, s7, v10, vcc_lo
	v_sub_co_u32 v21, s3, v7, s6
	v_sub_co_ci_u32_e32 v8, vcc_lo, v26, v8, vcc_lo
	s_delay_alu instid0(VALU_DEP_3) | instskip(NEXT) | instid1(VALU_DEP_3)
	v_subrev_co_ci_u32_e64 v10, s3, 0, v10, s3
	v_cmp_le_u32_e32 vcc_lo, s6, v21
	v_cndmask_b32_e64 v21, 0, -1, vcc_lo
	s_delay_alu instid0(VALU_DEP_3)
	v_cmp_le_u32_e32 vcc_lo, s7, v10
	v_cndmask_b32_e64 v22, 0, -1, vcc_lo
	v_cmp_le_u32_e32 vcc_lo, s6, v7
	v_cndmask_b32_e64 v7, 0, -1, vcc_lo
	;; [unrolled: 2-line block ×3, first 2 shown]
	v_cmp_eq_u32_e32 vcc_lo, s7, v10
	v_cndmask_b32_e32 v10, v22, v21, vcc_lo
	v_add_co_u32 v21, vcc_lo, v9, 1
	v_cmp_eq_u32_e32 vcc_lo, s7, v8
	v_cndmask_b32_e32 v7, v23, v7, vcc_lo
	s_delay_alu instid0(VALU_DEP_4) | instskip(NEXT) | instid1(VALU_DEP_4)
	v_cmp_ne_u32_e32 vcc_lo, 0, v10
	v_cndmask_b32_e32 v8, v21, v11, vcc_lo
	s_delay_alu instid0(VALU_DEP_3) | instskip(NEXT) | instid1(VALU_DEP_2)
	v_cmp_ne_u32_e32 vcc_lo, 0, v7
	v_cndmask_b32_e32 v7, v9, v8, vcc_lo
	v_xor_b32_e32 v8, s4, v25
                                        ; implicit-def: $vgpr9_vgpr10
	s_delay_alu instid0(VALU_DEP_1) | instskip(NEXT) | instid1(VALU_DEP_1)
	v_xor_b32_e32 v7, v7, v8
	v_sub_co_u32 v7, vcc_lo, v7, v8
.LBB2_36:                               ;   in Loop: Header=BB2_30 Depth=2
	s_and_not1_saveexec_b32 s3, s36
	s_cbranch_execz .LBB2_38
; %bb.37:                               ;   in Loop: Header=BB2_30 Depth=2
	v_rcp_iflag_f32_e32 v7, v20
	s_sub_i32 s4, 0, s30
	s_waitcnt_depctr 0xfff
	v_mul_f32_e32 v7, 0x4f7ffffe, v7
	s_delay_alu instid0(VALU_DEP_1) | instskip(NEXT) | instid1(VALU_DEP_1)
	v_cvt_u32_f32_e32 v7, v7
	v_mul_lo_u32 v8, s4, v7
	s_delay_alu instid0(VALU_DEP_1) | instskip(NEXT) | instid1(VALU_DEP_1)
	v_mul_hi_u32 v8, v7, v8
	v_add_nc_u32_e32 v7, v7, v8
	s_delay_alu instid0(VALU_DEP_1) | instskip(NEXT) | instid1(VALU_DEP_1)
	v_mul_hi_u32 v7, v9, v7
	v_mul_lo_u32 v8, v7, s30
	s_delay_alu instid0(VALU_DEP_1) | instskip(SKIP_1) | instid1(VALU_DEP_2)
	v_sub_nc_u32_e32 v8, v9, v8
	v_add_nc_u32_e32 v9, 1, v7
	v_subrev_nc_u32_e32 v10, s30, v8
	v_cmp_le_u32_e32 vcc_lo, s30, v8
	s_delay_alu instid0(VALU_DEP_2) | instskip(NEXT) | instid1(VALU_DEP_1)
	v_dual_cndmask_b32 v8, v8, v10 :: v_dual_cndmask_b32 v7, v7, v9
	v_cmp_le_u32_e32 vcc_lo, s30, v8
	s_delay_alu instid0(VALU_DEP_2) | instskip(NEXT) | instid1(VALU_DEP_1)
	v_add_nc_u32_e32 v9, 1, v7
	v_cndmask_b32_e32 v7, v7, v9, vcc_lo
.LBB2_38:                               ;   in Loop: Header=BB2_30 Depth=2
	s_or_b32 exec_lo, exec_lo, s3
	v_add_co_u32 v10, s3, v3, 1
	s_delay_alu instid0(VALU_DEP_1) | instskip(NEXT) | instid1(VALU_DEP_2)
	v_add_co_ci_u32_e64 v8, null, 0, 0, s3
	v_mul_lo_u32 v11, v10, s26
	s_delay_alu instid0(VALU_DEP_2) | instskip(SKIP_2) | instid1(VALU_DEP_2)
	v_mul_lo_u32 v21, v8, s18
	v_mad_u64_u32 v[8:9], null, v10, s18, -1
	v_mov_b32_e32 v10, v4
	v_add3_u32 v9, v21, v9, v11
	s_delay_alu instid0(VALU_DEP_1) | instskip(NEXT) | instid1(VALU_DEP_1)
	v_or_b32_e32 v11, s19, v9
	v_cmp_ne_u64_e32 vcc_lo, 0, v[10:11]
                                        ; implicit-def: $vgpr10_vgpr11
	s_and_saveexec_b32 s3, vcc_lo
	s_delay_alu instid0(SALU_CYCLE_1)
	s_xor_b32 s36, exec_lo, s3
	s_cbranch_execz .LBB2_40
; %bb.39:                               ;   in Loop: Header=BB2_30 Depth=2
	s_add_u32 s6, s30, s19
	s_mov_b32 s4, s19
	s_mov_b32 s5, s19
	s_addc_u32 s7, s19, s19
	s_delay_alu instid0(SALU_CYCLE_1) | instskip(NEXT) | instid1(SALU_CYCLE_1)
	s_xor_b64 s[6:7], s[6:7], s[4:5]
	v_cvt_f32_u32_e32 v10, s6
	v_cvt_f32_u32_e32 v11, s7
	s_sub_u32 s3, 0, s6
	s_subb_u32 s5, 0, s7
	s_delay_alu instid0(VALU_DEP_1) | instskip(NEXT) | instid1(VALU_DEP_1)
	v_fmac_f32_e32 v10, 0x4f800000, v11
	v_rcp_f32_e32 v10, v10
	s_waitcnt_depctr 0xfff
	v_mul_f32_e32 v10, 0x5f7ffffc, v10
	s_delay_alu instid0(VALU_DEP_1) | instskip(NEXT) | instid1(VALU_DEP_1)
	v_mul_f32_e32 v11, 0x2f800000, v10
	v_trunc_f32_e32 v11, v11
	s_delay_alu instid0(VALU_DEP_1) | instskip(SKIP_1) | instid1(VALU_DEP_2)
	v_fmac_f32_e32 v10, 0xcf800000, v11
	v_cvt_u32_f32_e32 v11, v11
	v_cvt_u32_f32_e32 v10, v10
	s_delay_alu instid0(VALU_DEP_2) | instskip(NEXT) | instid1(VALU_DEP_2)
	v_mul_lo_u32 v20, s3, v11
	v_mul_hi_u32 v21, s3, v10
	v_mul_lo_u32 v22, s5, v10
	s_delay_alu instid0(VALU_DEP_2) | instskip(SKIP_1) | instid1(VALU_DEP_2)
	v_add_nc_u32_e32 v20, v21, v20
	v_mul_lo_u32 v21, s3, v10
	v_add_nc_u32_e32 v20, v20, v22
	s_delay_alu instid0(VALU_DEP_2) | instskip(NEXT) | instid1(VALU_DEP_2)
	v_mul_hi_u32 v22, v10, v21
	v_mul_lo_u32 v23, v10, v20
	v_mul_hi_u32 v24, v10, v20
	v_mul_hi_u32 v25, v11, v21
	v_mul_lo_u32 v21, v11, v21
	v_mul_hi_u32 v26, v11, v20
	v_mul_lo_u32 v20, v11, v20
	v_add_co_u32 v22, vcc_lo, v22, v23
	v_add_co_ci_u32_e32 v23, vcc_lo, 0, v24, vcc_lo
	s_delay_alu instid0(VALU_DEP_2) | instskip(NEXT) | instid1(VALU_DEP_2)
	v_add_co_u32 v21, vcc_lo, v22, v21
	v_add_co_ci_u32_e32 v21, vcc_lo, v23, v25, vcc_lo
	v_add_co_ci_u32_e32 v22, vcc_lo, 0, v26, vcc_lo
	v_ashrrev_i32_e32 v25, 31, v9
	s_delay_alu instid0(VALU_DEP_3) | instskip(NEXT) | instid1(VALU_DEP_3)
	v_add_co_u32 v20, vcc_lo, v21, v20
	v_add_co_ci_u32_e32 v21, vcc_lo, 0, v22, vcc_lo
	s_delay_alu instid0(VALU_DEP_2) | instskip(NEXT) | instid1(VALU_DEP_2)
	v_add_co_u32 v10, vcc_lo, v10, v20
	v_add_co_ci_u32_e32 v11, vcc_lo, v11, v21, vcc_lo
	s_delay_alu instid0(VALU_DEP_2) | instskip(SKIP_1) | instid1(VALU_DEP_3)
	v_mul_hi_u32 v20, s3, v10
	v_mul_lo_u32 v22, s5, v10
	v_mul_lo_u32 v21, s3, v11
	s_delay_alu instid0(VALU_DEP_1) | instskip(SKIP_1) | instid1(VALU_DEP_2)
	v_add_nc_u32_e32 v20, v20, v21
	v_mul_lo_u32 v21, s3, v10
	v_add_nc_u32_e32 v20, v20, v22
	s_delay_alu instid0(VALU_DEP_2) | instskip(NEXT) | instid1(VALU_DEP_2)
	v_mul_hi_u32 v22, v10, v21
	v_mul_lo_u32 v23, v10, v20
	v_mul_hi_u32 v24, v10, v20
	v_mul_hi_u32 v26, v11, v21
	v_mul_lo_u32 v21, v11, v21
	v_mul_hi_u32 v27, v11, v20
	v_mul_lo_u32 v20, v11, v20
	v_add_co_u32 v22, vcc_lo, v22, v23
	v_add_co_ci_u32_e32 v23, vcc_lo, 0, v24, vcc_lo
	s_delay_alu instid0(VALU_DEP_2) | instskip(NEXT) | instid1(VALU_DEP_2)
	v_add_co_u32 v21, vcc_lo, v22, v21
	v_add_co_ci_u32_e32 v21, vcc_lo, v23, v26, vcc_lo
	v_add_co_ci_u32_e32 v22, vcc_lo, 0, v27, vcc_lo
	v_add_co_u32 v8, vcc_lo, v8, v25
	v_add_co_ci_u32_e32 v9, vcc_lo, v9, v25, vcc_lo
	s_delay_alu instid0(VALU_DEP_4) | instskip(NEXT) | instid1(VALU_DEP_4)
	v_add_co_u32 v20, vcc_lo, v21, v20
	v_add_co_ci_u32_e32 v21, vcc_lo, 0, v22, vcc_lo
	s_delay_alu instid0(VALU_DEP_4) | instskip(NEXT) | instid1(VALU_DEP_3)
	v_xor_b32_e32 v22, v8, v25
	v_add_co_u32 v20, vcc_lo, v10, v20
	s_delay_alu instid0(VALU_DEP_3) | instskip(SKIP_1) | instid1(VALU_DEP_3)
	v_add_co_ci_u32_e32 v23, vcc_lo, v11, v21, vcc_lo
	v_xor_b32_e32 v24, v9, v25
	v_mul_hi_u32 v26, v22, v20
	s_delay_alu instid0(VALU_DEP_3) | instskip(NEXT) | instid1(VALU_DEP_3)
	v_mad_u64_u32 v[8:9], null, v22, v23, 0
	v_mad_u64_u32 v[10:11], null, v24, v20, 0
	;; [unrolled: 1-line block ×3, first 2 shown]
	s_delay_alu instid0(VALU_DEP_3) | instskip(NEXT) | instid1(VALU_DEP_4)
	v_add_co_u32 v8, vcc_lo, v26, v8
	v_add_co_ci_u32_e32 v9, vcc_lo, 0, v9, vcc_lo
	s_delay_alu instid0(VALU_DEP_2) | instskip(NEXT) | instid1(VALU_DEP_2)
	v_add_co_u32 v8, vcc_lo, v8, v10
	v_add_co_ci_u32_e32 v8, vcc_lo, v9, v11, vcc_lo
	v_add_co_ci_u32_e32 v9, vcc_lo, 0, v21, vcc_lo
	s_delay_alu instid0(VALU_DEP_2) | instskip(NEXT) | instid1(VALU_DEP_2)
	v_add_co_u32 v10, vcc_lo, v8, v20
	v_add_co_ci_u32_e32 v11, vcc_lo, 0, v9, vcc_lo
	s_delay_alu instid0(VALU_DEP_2) | instskip(SKIP_1) | instid1(VALU_DEP_3)
	v_mul_lo_u32 v20, s7, v10
	v_mad_u64_u32 v[8:9], null, s6, v10, 0
	v_mul_lo_u32 v11, s6, v11
	s_delay_alu instid0(VALU_DEP_2) | instskip(NEXT) | instid1(VALU_DEP_2)
	v_sub_co_u32 v8, vcc_lo, v22, v8
	v_add3_u32 v9, v9, v11, v20
	v_add_co_u32 v20, s3, v10, 2
	s_delay_alu instid0(VALU_DEP_2) | instskip(NEXT) | instid1(VALU_DEP_1)
	v_sub_nc_u32_e32 v11, v24, v9
	v_subrev_co_ci_u32_e64 v11, s3, s7, v11, vcc_lo
	v_sub_co_u32 v21, s3, v8, s6
	v_sub_co_ci_u32_e32 v9, vcc_lo, v24, v9, vcc_lo
	s_delay_alu instid0(VALU_DEP_3) | instskip(NEXT) | instid1(VALU_DEP_3)
	v_subrev_co_ci_u32_e64 v11, s3, 0, v11, s3
	v_cmp_le_u32_e32 vcc_lo, s6, v21
	v_cndmask_b32_e64 v21, 0, -1, vcc_lo
	s_delay_alu instid0(VALU_DEP_3)
	v_cmp_le_u32_e32 vcc_lo, s7, v11
	v_cndmask_b32_e64 v22, 0, -1, vcc_lo
	v_cmp_le_u32_e32 vcc_lo, s6, v8
	v_cndmask_b32_e64 v8, 0, -1, vcc_lo
	;; [unrolled: 2-line block ×3, first 2 shown]
	v_cmp_eq_u32_e32 vcc_lo, s7, v11
	v_cndmask_b32_e32 v11, v22, v21, vcc_lo
	v_add_co_u32 v21, vcc_lo, v10, 1
	v_cmp_eq_u32_e32 vcc_lo, s7, v9
	v_cndmask_b32_e32 v8, v23, v8, vcc_lo
	s_delay_alu instid0(VALU_DEP_4) | instskip(NEXT) | instid1(VALU_DEP_4)
	v_cmp_ne_u32_e32 vcc_lo, 0, v11
	v_cndmask_b32_e32 v9, v21, v20, vcc_lo
	s_delay_alu instid0(VALU_DEP_3) | instskip(NEXT) | instid1(VALU_DEP_2)
	v_cmp_ne_u32_e32 vcc_lo, 0, v8
                                        ; implicit-def: $vgpr20
	v_cndmask_b32_e32 v8, v10, v9, vcc_lo
	v_xor_b32_e32 v9, s4, v25
	s_delay_alu instid0(VALU_DEP_1) | instskip(NEXT) | instid1(VALU_DEP_1)
	v_xor_b32_e32 v8, v8, v9
	v_sub_co_u32 v10, vcc_lo, v8, v9
                                        ; implicit-def: $vgpr8_vgpr9
.LBB2_40:                               ;   in Loop: Header=BB2_30 Depth=2
	s_and_not1_saveexec_b32 s3, s36
	s_cbranch_execz .LBB2_42
; %bb.41:                               ;   in Loop: Header=BB2_30 Depth=2
	v_rcp_iflag_f32_e32 v9, v20
	s_sub_i32 s4, 0, s30
	s_waitcnt_depctr 0xfff
	v_mul_f32_e32 v9, 0x4f7ffffe, v9
	s_delay_alu instid0(VALU_DEP_1) | instskip(NEXT) | instid1(VALU_DEP_1)
	v_cvt_u32_f32_e32 v9, v9
	v_mul_lo_u32 v10, s4, v9
	s_delay_alu instid0(VALU_DEP_1) | instskip(NEXT) | instid1(VALU_DEP_1)
	v_mul_hi_u32 v10, v9, v10
	v_add_nc_u32_e32 v9, v9, v10
	s_delay_alu instid0(VALU_DEP_1) | instskip(NEXT) | instid1(VALU_DEP_1)
	v_mul_hi_u32 v9, v8, v9
	v_mul_lo_u32 v10, v9, s30
	s_delay_alu instid0(VALU_DEP_1) | instskip(SKIP_1) | instid1(VALU_DEP_2)
	v_sub_nc_u32_e32 v8, v8, v10
	v_add_nc_u32_e32 v10, 1, v9
	v_subrev_nc_u32_e32 v11, s30, v8
	v_cmp_le_u32_e32 vcc_lo, s30, v8
	s_delay_alu instid0(VALU_DEP_2) | instskip(NEXT) | instid1(VALU_DEP_1)
	v_dual_cndmask_b32 v8, v8, v11 :: v_dual_cndmask_b32 v9, v9, v10
	v_cmp_le_u32_e32 vcc_lo, s30, v8
	s_delay_alu instid0(VALU_DEP_2) | instskip(NEXT) | instid1(VALU_DEP_1)
	v_add_nc_u32_e32 v10, 1, v9
	v_cndmask_b32_e32 v10, v9, v10, vcc_lo
.LBB2_42:                               ;   in Loop: Header=BB2_30 Depth=2
	s_or_b32 exec_lo, exec_lo, s3
	v_mad_u64_u32 v[8:9], null, v6, s18, v[7:8]
	s_and_not1_b32 vcc_lo, exec_lo, s1
	s_delay_alu instid0(VALU_DEP_1) | instskip(NEXT) | instid1(VALU_DEP_1)
	v_sub_nc_u32_e32 v6, v10, v8
	v_dual_mov_b32 v6, 0 :: v_dual_add_nc_u32 v7, 1, v6
	s_cbranch_vccnz .LBB2_29
; %bb.43:                               ;   in Loop: Header=BB2_30 Depth=2
	s_delay_alu instid0(VALU_DEP_1)
	v_cmp_lt_i32_e64 s3, 0, v7
	v_mov_b32_e32 v6, 0
	s_mov_b32 s4, 0
	s_branch .LBB2_46
.LBB2_44:                               ;   in Loop: Header=BB2_46 Depth=3
	s_or_b32 exec_lo, exec_lo, s6
.LBB2_45:                               ;   in Loop: Header=BB2_46 Depth=3
	s_delay_alu instid0(SALU_CYCLE_1) | instskip(SKIP_1) | instid1(SALU_CYCLE_1)
	s_or_b32 exec_lo, exec_lo, s5
	s_add_i32 s4, s4, 1
	v_cmp_ne_u32_e32 vcc_lo, s4, v13
	s_cbranch_vccz .LBB2_29
.LBB2_46:                               ;   Parent Loop BB2_15 Depth=1
                                        ;     Parent Loop BB2_30 Depth=2
                                        ; =>    This Loop Header: Depth=3
                                        ;         Child Loop BB2_49 Depth 4
                                        ;           Child Loop BB2_51 Depth 5
	s_and_saveexec_b32 s5, s2
	s_cbranch_execz .LBB2_45
; %bb.47:                               ;   in Loop: Header=BB2_46 Depth=3
	v_add_nc_u32_e32 v9, s4, v1
	s_mov_b32 s6, 0
	s_mov_b32 s7, 0
	s_delay_alu instid0(VALU_DEP_1) | instskip(SKIP_3) | instid1(VALU_DEP_4)
	v_ashrrev_i32_e32 v10, 31, v9
	v_mul_lo_u32 v11, v9, s11
	v_mul_hi_u32 v20, v9, s10
	v_mul_lo_u32 v9, v9, s10
	v_mul_lo_u32 v10, v10, s10
	s_delay_alu instid0(VALU_DEP_3) | instskip(NEXT) | instid1(VALU_DEP_1)
	v_add_nc_u32_e32 v11, v20, v11
	v_add_nc_u32_e32 v10, v11, v10
	s_delay_alu instid0(VALU_DEP_1) | instskip(NEXT) | instid1(VALU_DEP_1)
	v_lshlrev_b64 v[9:10], 1, v[9:10]
	v_add_co_u32 v9, vcc_lo, s9, v9
	s_delay_alu instid0(VALU_DEP_2)
	v_add_co_ci_u32_e32 v10, vcc_lo, s27, v10, vcc_lo
	s_branch .LBB2_49
.LBB2_48:                               ;   in Loop: Header=BB2_49 Depth=4
	s_or_b32 exec_lo, exec_lo, s36
	s_add_i32 s7, s7, 1
	s_delay_alu instid0(SALU_CYCLE_1) | instskip(SKIP_1) | instid1(SALU_CYCLE_1)
	v_cmp_ge_i32_e32 vcc_lo, s7, v16
	s_or_b32 s6, vcc_lo, s6
	s_and_not1_b32 exec_lo, exec_lo, s6
	s_cbranch_execz .LBB2_44
.LBB2_49:                               ;   Parent Loop BB2_15 Depth=1
                                        ;     Parent Loop BB2_30 Depth=2
                                        ;       Parent Loop BB2_46 Depth=3
                                        ; =>      This Loop Header: Depth=4
                                        ;           Child Loop BB2_51 Depth 5
	s_and_saveexec_b32 s36, s3
	s_cbranch_execz .LBB2_48
; %bb.50:                               ;   in Loop: Header=BB2_49 Depth=4
	v_add_nc_u32_e32 v11, s7, v5
	s_mov_b32 s37, 0
	s_mov_b32 s38, 0
	s_delay_alu instid0(VALU_DEP_1) | instskip(SKIP_2) | instid1(VALU_DEP_3)
	v_ashrrev_i32_e32 v22, 31, v11
	v_mul_lo_u32 v23, v11, s13
	v_mad_u64_u32 v[20:21], null, v11, s12, 0
	v_mul_lo_u32 v11, v22, s12
	s_delay_alu instid0(VALU_DEP_1) | instskip(NEXT) | instid1(VALU_DEP_1)
	v_add3_u32 v21, v21, v23, v11
	v_lshlrev_b64 v[20:21], 1, v[20:21]
	s_delay_alu instid0(VALU_DEP_1) | instskip(NEXT) | instid1(VALU_DEP_2)
	v_add_co_u32 v11, vcc_lo, v9, v20
	v_add_co_ci_u32_e32 v20, vcc_lo, v10, v21, vcc_lo
	.p2align	6
.LBB2_51:                               ;   Parent Loop BB2_15 Depth=1
                                        ;     Parent Loop BB2_30 Depth=2
                                        ;       Parent Loop BB2_46 Depth=3
                                        ;         Parent Loop BB2_49 Depth=4
                                        ; =>        This Inner Loop Header: Depth=5
	v_add_nc_u32_e32 v23, s38, v8
	s_add_i32 s38, s38, 1
	s_delay_alu instid0(VALU_DEP_1) | instskip(SKIP_2) | instid1(VALU_DEP_3)
	v_ashrrev_i32_e32 v24, 31, v23
	v_mul_lo_u32 v25, v23, s15
	v_mad_u64_u32 v[21:22], null, v23, s14, 0
	v_mul_lo_u32 v23, v24, s14
	s_delay_alu instid0(VALU_DEP_1) | instskip(NEXT) | instid1(VALU_DEP_1)
	v_add3_u32 v22, v22, v25, v23
	v_lshlrev_b64 v[21:22], 1, v[21:22]
	s_delay_alu instid0(VALU_DEP_1) | instskip(NEXT) | instid1(VALU_DEP_2)
	v_add_co_u32 v21, vcc_lo, v11, v21
	v_add_co_ci_u32_e32 v22, vcc_lo, v20, v22, vcc_lo
	v_cmp_ge_i32_e32 vcc_lo, s38, v7
	global_load_u16 v21, v[21:22], off
	s_or_b32 s37, vcc_lo, s37
	s_waitcnt vmcnt(0)
	v_cvt_f32_f16_e32 v21, v21
	s_delay_alu instid0(VALU_DEP_1)
	v_add_f32_e32 v6, v6, v21
	s_and_not1_b32 exec_lo, exec_lo, s37
	s_cbranch_execnz .LBB2_51
; %bb.52:                               ;   in Loop: Header=BB2_49 Depth=4
	s_or_b32 exec_lo, exec_lo, s37
	s_branch .LBB2_48
.LBB2_53:
	s_nop 0
	s_sendmsg sendmsg(MSG_DEALLOC_VGPRS)
	s_endpgm
.LBB2_54:
                                        ; implicit-def: $sgpr24_sgpr25
	v_cvt_f32_u32_e32 v3, s4
	s_branch .LBB2_2
.LBB2_55:
                                        ; implicit-def: $vgpr1_vgpr2
	s_branch .LBB2_5
.LBB2_56:
                                        ; implicit-def: $vgpr4_vgpr5
	s_load_b32 s36, s[0:1], 0x6c
	s_branch .LBB2_8
.LBB2_57:
                                        ; implicit-def: $sgpr28_sgpr29
	s_load_b32 s31, s[0:1], 0x64
	s_branch .LBB2_12
	.section	.rodata,"a",@progbits
	.p2align	6, 0x0
	.amdhsa_kernel _ZN2at6native12_GLOBAL__N_119adaptiveaveragepoolIN3c104HalfEfEEvPKT_PS5_iiiiiilllllll
		.amdhsa_group_segment_fixed_size 0
		.amdhsa_private_segment_fixed_size 0
		.amdhsa_kernarg_size 352
		.amdhsa_user_sgpr_count 14
		.amdhsa_user_sgpr_dispatch_ptr 0
		.amdhsa_user_sgpr_queue_ptr 0
		.amdhsa_user_sgpr_kernarg_segment_ptr 1
		.amdhsa_user_sgpr_dispatch_id 0
		.amdhsa_user_sgpr_private_segment_size 0
		.amdhsa_wavefront_size32 1
		.amdhsa_uses_dynamic_stack 0
		.amdhsa_enable_private_segment 0
		.amdhsa_system_sgpr_workgroup_id_x 1
		.amdhsa_system_sgpr_workgroup_id_y 1
		.amdhsa_system_sgpr_workgroup_id_z 0
		.amdhsa_system_sgpr_workgroup_info 0
		.amdhsa_system_vgpr_workitem_id 1
		.amdhsa_next_free_vgpr 28
		.amdhsa_next_free_sgpr 43
		.amdhsa_reserve_vcc 1
		.amdhsa_float_round_mode_32 0
		.amdhsa_float_round_mode_16_64 0
		.amdhsa_float_denorm_mode_32 3
		.amdhsa_float_denorm_mode_16_64 3
		.amdhsa_dx10_clamp 1
		.amdhsa_ieee_mode 1
		.amdhsa_fp16_overflow 0
		.amdhsa_workgroup_processor_mode 1
		.amdhsa_memory_ordered 1
		.amdhsa_forward_progress 0
		.amdhsa_shared_vgpr_count 0
		.amdhsa_exception_fp_ieee_invalid_op 0
		.amdhsa_exception_fp_denorm_src 0
		.amdhsa_exception_fp_ieee_div_zero 0
		.amdhsa_exception_fp_ieee_overflow 0
		.amdhsa_exception_fp_ieee_underflow 0
		.amdhsa_exception_fp_ieee_inexact 0
		.amdhsa_exception_int_div_zero 0
	.end_amdhsa_kernel
	.section	.text._ZN2at6native12_GLOBAL__N_119adaptiveaveragepoolIN3c104HalfEfEEvPKT_PS5_iiiiiilllllll,"axG",@progbits,_ZN2at6native12_GLOBAL__N_119adaptiveaveragepoolIN3c104HalfEfEEvPKT_PS5_iiiiiilllllll,comdat
.Lfunc_end2:
	.size	_ZN2at6native12_GLOBAL__N_119adaptiveaveragepoolIN3c104HalfEfEEvPKT_PS5_iiiiiilllllll, .Lfunc_end2-_ZN2at6native12_GLOBAL__N_119adaptiveaveragepoolIN3c104HalfEfEEvPKT_PS5_iiiiiilllllll
                                        ; -- End function
	.section	.AMDGPU.csdata,"",@progbits
; Kernel info:
; codeLenInByte = 9624
; NumSgprs: 45
; NumVgprs: 28
; ScratchSize: 0
; MemoryBound: 0
; FloatMode: 240
; IeeeMode: 1
; LDSByteSize: 0 bytes/workgroup (compile time only)
; SGPRBlocks: 5
; VGPRBlocks: 3
; NumSGPRsForWavesPerEU: 45
; NumVGPRsForWavesPerEU: 28
; Occupancy: 16
; WaveLimiterHint : 0
; COMPUTE_PGM_RSRC2:SCRATCH_EN: 0
; COMPUTE_PGM_RSRC2:USER_SGPR: 14
; COMPUTE_PGM_RSRC2:TRAP_HANDLER: 0
; COMPUTE_PGM_RSRC2:TGID_X_EN: 1
; COMPUTE_PGM_RSRC2:TGID_Y_EN: 1
; COMPUTE_PGM_RSRC2:TGID_Z_EN: 0
; COMPUTE_PGM_RSRC2:TIDIG_COMP_CNT: 1
	.section	.text._ZN2at6native12_GLOBAL__N_119adaptiveaveragepoolIN3c108BFloat16EfEEvPKT_PS5_iiiiiilllllll,"axG",@progbits,_ZN2at6native12_GLOBAL__N_119adaptiveaveragepoolIN3c108BFloat16EfEEvPKT_PS5_iiiiiilllllll,comdat
	.globl	_ZN2at6native12_GLOBAL__N_119adaptiveaveragepoolIN3c108BFloat16EfEEvPKT_PS5_iiiiiilllllll ; -- Begin function _ZN2at6native12_GLOBAL__N_119adaptiveaveragepoolIN3c108BFloat16EfEEvPKT_PS5_iiiiiilllllll
	.p2align	8
	.type	_ZN2at6native12_GLOBAL__N_119adaptiveaveragepoolIN3c108BFloat16EfEEvPKT_PS5_iiiiiilllllll,@function
_ZN2at6native12_GLOBAL__N_119adaptiveaveragepoolIN3c108BFloat16EfEEvPKT_PS5_iiiiiilllllll: ; @_ZN2at6native12_GLOBAL__N_119adaptiveaveragepoolIN3c108BFloat16EfEEvPKT_PS5_iiiiiilllllll
; %bb.0:
	s_clause 0x2
	s_load_b64 s[2:3], s[0:1], 0x58
	s_load_b128 s[16:19], s[0:1], 0x10
	s_load_b64 s[20:21], s[0:1], 0x20
	s_waitcnt lgkmcnt(0)
	s_add_u32 s22, s14, s2
	s_addc_u32 s23, 0, s3
	s_ashr_i32 s5, s19, 31
	s_mov_b32 s4, s19
	s_delay_alu instid0(SALU_CYCLE_1) | instskip(SKIP_1) | instid1(SALU_CYCLE_1)
	s_or_b64 s[2:3], s[22:23], s[4:5]
	s_mov_b32 s2, 0
	s_cmp_lg_u64 s[2:3], 0
	s_cbranch_scc0 .LBB3_54
; %bb.1:
	s_add_u32 s8, s4, s5
	s_mov_b32 s6, s5
	s_mov_b32 s7, s5
	s_addc_u32 s9, s5, s5
	s_delay_alu instid0(SALU_CYCLE_1) | instskip(NEXT) | instid1(SALU_CYCLE_1)
	s_xor_b64 s[8:9], s[8:9], s[6:7]
	v_cvt_f32_u32_e32 v1, s8
	v_cvt_f32_u32_e32 v2, s9
	s_sub_u32 s11, 0, s8
	s_subb_u32 s12, 0, s9
	s_delay_alu instid0(VALU_DEP_1) | instskip(NEXT) | instid1(VALU_DEP_1)
	v_fmamk_f32 v1, v2, 0x4f800000, v1
	v_rcp_f32_e32 v1, v1
	s_waitcnt_depctr 0xfff
	v_mul_f32_e32 v1, 0x5f7ffffc, v1
	s_delay_alu instid0(VALU_DEP_1) | instskip(NEXT) | instid1(VALU_DEP_1)
	v_mul_f32_e32 v2, 0x2f800000, v1
	v_trunc_f32_e32 v2, v2
	s_delay_alu instid0(VALU_DEP_1) | instskip(SKIP_1) | instid1(VALU_DEP_2)
	v_fmamk_f32 v1, v2, 0xcf800000, v1
	v_cvt_u32_f32_e32 v2, v2
	v_cvt_u32_f32_e32 v1, v1
	s_delay_alu instid0(VALU_DEP_2) | instskip(NEXT) | instid1(VALU_DEP_2)
	v_readfirstlane_b32 s3, v2
	v_readfirstlane_b32 s10, v1
	s_delay_alu instid0(VALU_DEP_2) | instskip(NEXT) | instid1(VALU_DEP_1)
	s_mul_i32 s13, s11, s3
	s_mul_hi_u32 s19, s11, s10
	s_mul_i32 s14, s12, s10
	s_add_i32 s13, s19, s13
	s_mul_i32 s24, s11, s10
	s_add_i32 s13, s13, s14
	s_mul_hi_u32 s19, s10, s24
	s_mul_hi_u32 s25, s3, s24
	s_mul_i32 s14, s3, s24
	s_mul_hi_u32 s24, s10, s13
	s_mul_i32 s10, s10, s13
	s_mul_hi_u32 s26, s3, s13
	s_add_u32 s10, s19, s10
	s_addc_u32 s19, 0, s24
	s_add_u32 s10, s10, s14
	s_mul_i32 s13, s3, s13
	s_addc_u32 s10, s19, s25
	s_addc_u32 s14, s26, 0
	s_add_u32 s10, s10, s13
	s_addc_u32 s13, 0, s14
	v_add_co_u32 v1, s10, v1, s10
	s_delay_alu instid0(VALU_DEP_1) | instskip(SKIP_1) | instid1(VALU_DEP_1)
	s_cmp_lg_u32 s10, 0
	s_addc_u32 s3, s3, s13
	v_readfirstlane_b32 s10, v1
	s_mul_i32 s13, s11, s3
	s_delay_alu instid0(VALU_DEP_1)
	s_mul_hi_u32 s14, s11, s10
	s_mul_i32 s12, s12, s10
	s_add_i32 s13, s14, s13
	s_mul_i32 s11, s11, s10
	s_add_i32 s13, s13, s12
	s_mul_hi_u32 s14, s3, s11
	s_mul_i32 s19, s3, s11
	s_mul_hi_u32 s11, s10, s11
	s_mul_hi_u32 s24, s10, s13
	s_mul_i32 s10, s10, s13
	s_mul_hi_u32 s12, s3, s13
	s_add_u32 s10, s11, s10
	s_addc_u32 s11, 0, s24
	s_add_u32 s10, s10, s19
	s_mul_i32 s13, s3, s13
	s_addc_u32 s10, s11, s14
	s_addc_u32 s11, s12, 0
	s_add_u32 s10, s10, s13
	s_addc_u32 s11, 0, s11
	v_add_co_u32 v1, s10, v1, s10
	s_delay_alu instid0(VALU_DEP_1) | instskip(SKIP_2) | instid1(VALU_DEP_1)
	s_cmp_lg_u32 s10, 0
	s_addc_u32 s3, s3, s11
	s_ashr_i32 s10, s23, 31
	v_readfirstlane_b32 s14, v1
	s_add_u32 s12, s22, s10
	s_mov_b32 s11, s10
	s_addc_u32 s13, s23, s10
	s_delay_alu instid0(SALU_CYCLE_1) | instskip(NEXT) | instid1(SALU_CYCLE_1)
	s_xor_b64 s[12:13], s[12:13], s[10:11]
	s_mul_i32 s24, s12, s3
	s_mul_hi_u32 s25, s12, s14
	s_mul_hi_u32 s19, s12, s3
	;; [unrolled: 1-line block ×3, first 2 shown]
	s_mul_i32 s14, s13, s14
	s_add_u32 s24, s25, s24
	s_addc_u32 s19, 0, s19
	s_mul_hi_u32 s26, s13, s3
	s_add_u32 s14, s24, s14
	s_mul_i32 s3, s13, s3
	s_addc_u32 s14, s19, s27
	s_addc_u32 s19, s26, 0
	s_add_u32 s3, s14, s3
	s_addc_u32 s14, 0, s19
	s_mul_i32 s26, s8, s3
	s_mul_hi_u32 s19, s8, s3
	s_mul_i32 s25, s8, s14
	v_sub_co_u32 v1, s12, s12, s26
	s_mul_i32 s24, s9, s3
	s_add_i32 s19, s19, s25
	s_delay_alu instid0(SALU_CYCLE_1) | instskip(NEXT) | instid1(VALU_DEP_1)
	s_add_i32 s19, s19, s24
	v_sub_co_u32 v2, s25, v1, s8
	s_sub_i32 s24, s13, s19
	s_cmp_lg_u32 s12, 0
	s_subb_u32 s24, s24, s9
	s_cmp_lg_u32 s25, 0
	v_readfirstlane_b32 s25, v2
	s_subb_u32 s24, s24, 0
	s_delay_alu instid0(SALU_CYCLE_1) | instskip(SKIP_1) | instid1(VALU_DEP_1)
	s_cmp_ge_u32 s24, s9
	s_cselect_b32 s26, -1, 0
	s_cmp_ge_u32 s25, s8
	s_cselect_b32 s25, -1, 0
	s_cmp_eq_u32 s24, s9
	s_cselect_b32 s24, s25, s26
	s_add_u32 s25, s3, 1
	s_addc_u32 s26, s14, 0
	s_add_u32 s27, s3, 2
	s_addc_u32 s28, s14, 0
	s_cmp_lg_u32 s24, 0
	s_cselect_b32 s24, s27, s25
	s_cselect_b32 s25, s28, s26
	s_cmp_lg_u32 s12, 0
	v_readfirstlane_b32 s12, v1
	s_subb_u32 s13, s13, s19
	s_delay_alu instid0(SALU_CYCLE_1) | instskip(SKIP_1) | instid1(VALU_DEP_1)
	s_cmp_ge_u32 s13, s9
	s_cselect_b32 s19, -1, 0
	s_cmp_ge_u32 s12, s8
	s_cselect_b32 s8, -1, 0
	s_cmp_eq_u32 s13, s9
	s_cselect_b32 s8, s8, s19
	s_delay_alu instid0(SALU_CYCLE_1) | instskip(SKIP_3) | instid1(SALU_CYCLE_1)
	s_cmp_lg_u32 s8, 0
	s_cselect_b32 s9, s25, s14
	s_cselect_b32 s8, s24, s3
	s_xor_b64 s[6:7], s[10:11], s[6:7]
	s_xor_b64 s[8:9], s[8:9], s[6:7]
	s_delay_alu instid0(SALU_CYCLE_1)
	s_sub_u32 s24, s8, s6
	s_subb_u32 s25, s9, s7
	v_cvt_f32_u32_e32 v3, s4
	s_and_not1_b32 vcc_lo, exec_lo, s2
	s_cbranch_vccnz .LBB3_3
.LBB3_2:
	s_delay_alu instid0(VALU_DEP_1) | instskip(SKIP_4) | instid1(VALU_DEP_1)
	v_rcp_iflag_f32_e32 v1, v3
	s_sub_i32 s3, 0, s4
	s_mov_b32 s25, 0
	s_waitcnt_depctr 0xfff
	v_mul_f32_e32 v1, 0x4f7ffffe, v1
	v_cvt_u32_f32_e32 v1, v1
	s_delay_alu instid0(VALU_DEP_1) | instskip(NEXT) | instid1(VALU_DEP_1)
	v_readfirstlane_b32 s2, v1
	s_mul_i32 s3, s3, s2
	s_delay_alu instid0(SALU_CYCLE_1) | instskip(NEXT) | instid1(SALU_CYCLE_1)
	s_mul_hi_u32 s3, s2, s3
	s_add_i32 s2, s2, s3
	s_delay_alu instid0(SALU_CYCLE_1) | instskip(NEXT) | instid1(SALU_CYCLE_1)
	s_mul_hi_u32 s2, s22, s2
	s_mul_i32 s3, s2, s4
	s_add_i32 s6, s2, 1
	s_sub_i32 s3, s22, s3
	s_delay_alu instid0(SALU_CYCLE_1)
	s_sub_i32 s7, s3, s4
	s_cmp_ge_u32 s3, s4
	s_cselect_b32 s2, s6, s2
	s_cselect_b32 s3, s7, s3
	s_add_i32 s6, s2, 1
	s_cmp_ge_u32 s3, s4
	s_cselect_b32 s24, s6, s2
.LBB3_3:
	s_delay_alu instid0(SALU_CYCLE_1) | instskip(SKIP_4) | instid1(SALU_CYCLE_1)
	s_mul_i32 s2, s24, s5
	s_mul_hi_u32 s3, s24, s4
	s_mul_i32 s6, s24, s4
	s_add_i32 s2, s3, s2
	s_mul_i32 s3, s25, s4
	s_add_i32 s2, s2, s3
	s_sub_u32 s3, s22, s6
	s_subb_u32 s2, s23, s2
	s_ashr_i32 s12, s16, 31
	s_mul_hi_u32 s7, s3, s16
	s_mul_i32 s6, s3, s12
	s_mul_i32 s2, s2, s16
	s_add_i32 s6, s7, s6
	s_delay_alu instid0(SALU_CYCLE_1) | instskip(SKIP_1) | instid1(SALU_CYCLE_1)
	s_add_i32 s7, s6, s2
	s_mul_i32 s6, s3, s16
	s_or_b64 s[8:9], s[6:7], s[4:5]
	s_mov_b32 s8, 0
	s_delay_alu instid0(SALU_CYCLE_1)
	s_cmp_lg_u64 s[8:9], 0
	s_mov_b32 s9, s16
	s_cbranch_scc0 .LBB3_55
; %bb.4:
	s_add_u32 s2, s4, s5
	s_mov_b32 s10, s5
	s_mov_b32 s11, s5
	s_addc_u32 s3, s5, s5
	s_delay_alu instid0(SALU_CYCLE_1) | instskip(NEXT) | instid1(SALU_CYCLE_1)
	s_xor_b64 s[2:3], s[2:3], s[10:11]
	v_cvt_f32_u32_e32 v1, s2
	v_cvt_f32_u32_e32 v2, s3
	s_sub_u32 s16, 0, s2
	s_subb_u32 s19, 0, s3
	s_delay_alu instid0(VALU_DEP_1) | instskip(NEXT) | instid1(VALU_DEP_1)
	v_fmamk_f32 v1, v2, 0x4f800000, v1
	v_rcp_f32_e32 v1, v1
	s_waitcnt_depctr 0xfff
	v_mul_f32_e32 v1, 0x5f7ffffc, v1
	s_delay_alu instid0(VALU_DEP_1) | instskip(NEXT) | instid1(VALU_DEP_1)
	v_mul_f32_e32 v2, 0x2f800000, v1
	v_trunc_f32_e32 v2, v2
	s_delay_alu instid0(VALU_DEP_1) | instskip(SKIP_1) | instid1(VALU_DEP_2)
	v_fmamk_f32 v1, v2, 0xcf800000, v1
	v_cvt_u32_f32_e32 v2, v2
	v_cvt_u32_f32_e32 v1, v1
	s_delay_alu instid0(VALU_DEP_2) | instskip(NEXT) | instid1(VALU_DEP_2)
	v_readfirstlane_b32 s13, v2
	v_readfirstlane_b32 s14, v1
	s_delay_alu instid0(VALU_DEP_2) | instskip(NEXT) | instid1(VALU_DEP_1)
	s_mul_i32 s26, s16, s13
	s_mul_hi_u32 s28, s16, s14
	s_mul_i32 s27, s19, s14
	s_add_i32 s26, s28, s26
	s_mul_i32 s29, s16, s14
	s_add_i32 s26, s26, s27
	s_mul_hi_u32 s28, s14, s29
	s_mul_hi_u32 s30, s13, s29
	s_mul_i32 s27, s13, s29
	s_mul_hi_u32 s29, s14, s26
	s_mul_i32 s14, s14, s26
	s_mul_hi_u32 s31, s13, s26
	s_add_u32 s14, s28, s14
	s_addc_u32 s28, 0, s29
	s_add_u32 s14, s14, s27
	s_mul_i32 s26, s13, s26
	s_addc_u32 s14, s28, s30
	s_addc_u32 s27, s31, 0
	s_add_u32 s14, s14, s26
	s_addc_u32 s26, 0, s27
	v_add_co_u32 v1, s14, v1, s14
	s_delay_alu instid0(VALU_DEP_1) | instskip(SKIP_1) | instid1(VALU_DEP_1)
	s_cmp_lg_u32 s14, 0
	s_addc_u32 s13, s13, s26
	v_readfirstlane_b32 s14, v1
	s_mul_i32 s26, s16, s13
	s_delay_alu instid0(VALU_DEP_1)
	s_mul_hi_u32 s27, s16, s14
	s_mul_i32 s19, s19, s14
	s_add_i32 s26, s27, s26
	s_mul_i32 s16, s16, s14
	s_add_i32 s26, s26, s19
	s_mul_hi_u32 s27, s13, s16
	s_mul_i32 s28, s13, s16
	s_mul_hi_u32 s16, s14, s16
	s_mul_hi_u32 s29, s14, s26
	s_mul_i32 s14, s14, s26
	s_mul_hi_u32 s19, s13, s26
	s_add_u32 s14, s16, s14
	s_addc_u32 s16, 0, s29
	s_add_u32 s14, s14, s28
	s_mul_i32 s26, s13, s26
	s_addc_u32 s14, s16, s27
	s_addc_u32 s16, s19, 0
	s_add_u32 s14, s14, s26
	s_addc_u32 s16, 0, s16
	v_add_co_u32 v1, s14, v1, s14
	s_delay_alu instid0(VALU_DEP_1) | instskip(SKIP_2) | instid1(VALU_DEP_1)
	s_cmp_lg_u32 s14, 0
	s_addc_u32 s13, s13, s16
	s_ashr_i32 s26, s7, 31
	v_readfirstlane_b32 s14, v1
	s_add_u32 s28, s6, s26
	s_mov_b32 s27, s26
	s_addc_u32 s29, s7, s26
	s_delay_alu instid0(SALU_CYCLE_1) | instskip(NEXT) | instid1(SALU_CYCLE_1)
	s_xor_b64 s[28:29], s[28:29], s[26:27]
	s_mul_i32 s19, s28, s13
	s_mul_hi_u32 s30, s28, s14
	s_mul_hi_u32 s16, s28, s13
	;; [unrolled: 1-line block ×3, first 2 shown]
	s_mul_i32 s14, s29, s14
	s_add_u32 s19, s30, s19
	s_addc_u32 s16, 0, s16
	s_mul_hi_u32 s31, s29, s13
	s_add_u32 s14, s19, s14
	s_mul_i32 s13, s29, s13
	s_addc_u32 s14, s16, s33
	s_addc_u32 s16, s31, 0
	s_add_u32 s13, s14, s13
	s_addc_u32 s14, 0, s16
	s_mul_hi_u32 s16, s2, s13
	s_mul_i32 s14, s2, s14
	s_mul_i32 s30, s2, s13
	;; [unrolled: 1-line block ×3, first 2 shown]
	s_add_i32 s14, s16, s14
	v_sub_co_u32 v1, s16, s28, s30
	s_add_i32 s14, s14, s19
	s_delay_alu instid0(SALU_CYCLE_1) | instskip(SKIP_1) | instid1(VALU_DEP_1)
	s_sub_i32 s19, s29, s14
	s_cmp_lg_u32 s16, 0
	v_sub_co_u32 v2, s28, v1, s2
	s_subb_u32 s19, s19, s3
	s_cmp_lg_u32 s28, 0
	s_subb_u32 s19, s19, 0
	s_delay_alu instid0(VALU_DEP_1)
	v_cmp_le_u32_e32 vcc_lo, s2, v2
	s_cmp_ge_u32 s19, s3
	v_cmp_le_u32_e64 s2, s2, v1
	s_cselect_b32 s28, -1, 0
	s_cmp_eq_u32 s19, s3
	v_cndmask_b32_e64 v2, 0, -1, vcc_lo
	s_cselect_b32 vcc_lo, -1, 0
	s_add_u32 s19, s13, 1
	s_add_u32 s30, s13, 2
	s_cmp_lg_u32 s16, 0
	v_mov_b32_e32 v4, s30
	v_cndmask_b32_e64 v1, 0, -1, s2
	s_subb_u32 s2, s29, s14
	v_cndmask_b32_e32 v2, s28, v2, vcc_lo
	s_cmp_ge_u32 s2, s3
	s_cselect_b32 s14, -1, 0
	s_cmp_eq_u32 s2, s3
	s_cselect_b32 vcc_lo, -1, 0
	s_xor_b64 s[2:3], s[26:27], s[10:11]
	v_cndmask_b32_e32 v1, s14, v1, vcc_lo
	v_cmp_ne_u32_e32 vcc_lo, 0, v2
	v_cndmask_b32_e32 v2, s19, v4, vcc_lo
	s_delay_alu instid0(VALU_DEP_3) | instskip(NEXT) | instid1(VALU_DEP_2)
	v_cmp_ne_u32_e32 vcc_lo, 0, v1
	v_cndmask_b32_e32 v1, s13, v2, vcc_lo
	s_delay_alu instid0(VALU_DEP_1) | instskip(NEXT) | instid1(VALU_DEP_1)
	v_xor_b32_e32 v1, s2, v1
	v_sub_co_u32 v1, vcc_lo, v1, s2
	s_and_not1_b32 vcc_lo, exec_lo, s8
	s_cbranch_vccnz .LBB3_6
.LBB3_5:
	v_rcp_iflag_f32_e32 v1, v3
	s_sub_i32 s2, 0, s4
	s_waitcnt_depctr 0xfff
	v_mul_f32_e32 v1, 0x4f7ffffe, v1
	s_delay_alu instid0(VALU_DEP_1) | instskip(NEXT) | instid1(VALU_DEP_1)
	v_cvt_u32_f32_e32 v1, v1
	v_mul_lo_u32 v2, s2, v1
	s_delay_alu instid0(VALU_DEP_1) | instskip(NEXT) | instid1(VALU_DEP_1)
	v_mul_hi_u32 v2, v1, v2
	v_add_nc_u32_e32 v1, v1, v2
	s_delay_alu instid0(VALU_DEP_1) | instskip(NEXT) | instid1(VALU_DEP_1)
	v_mul_hi_u32 v1, s6, v1
	v_mul_lo_u32 v2, v1, s4
	v_add_nc_u32_e32 v4, 1, v1
	s_delay_alu instid0(VALU_DEP_2) | instskip(NEXT) | instid1(VALU_DEP_1)
	v_sub_nc_u32_e32 v2, s6, v2
	v_subrev_nc_u32_e32 v5, s4, v2
	v_cmp_le_u32_e32 vcc_lo, s4, v2
	s_delay_alu instid0(VALU_DEP_2) | instskip(NEXT) | instid1(VALU_DEP_1)
	v_dual_cndmask_b32 v2, v2, v5 :: v_dual_cndmask_b32 v1, v1, v4
	v_cmp_le_u32_e32 vcc_lo, s4, v2
	s_delay_alu instid0(VALU_DEP_2) | instskip(NEXT) | instid1(VALU_DEP_1)
	v_add_nc_u32_e32 v4, 1, v1
	v_cndmask_b32_e32 v1, v1, v4, vcc_lo
.LBB3_6:
	s_add_u32 s2, s6, s9
	s_addc_u32 s3, s7, s12
	s_add_u32 s6, s2, -1
	s_addc_u32 s7, s3, -1
	s_delay_alu instid0(SALU_CYCLE_1) | instskip(SKIP_1) | instid1(SALU_CYCLE_1)
	s_or_b64 s[8:9], s[6:7], s[4:5]
	s_mov_b32 s8, 0
	s_cmp_lg_u64 s[8:9], 0
	s_cbranch_scc0 .LBB3_56
; %bb.7:
	s_add_u32 s2, s4, s5
	s_mov_b32 s10, s5
	s_mov_b32 s11, s5
	s_addc_u32 s3, s5, s5
	s_delay_alu instid0(SALU_CYCLE_1) | instskip(NEXT) | instid1(SALU_CYCLE_1)
	s_xor_b64 s[2:3], s[2:3], s[10:11]
	v_cvt_f32_u32_e32 v2, s2
	v_cvt_f32_u32_e32 v4, s3
	s_sub_u32 s12, 0, s2
	s_subb_u32 s13, 0, s3
	s_delay_alu instid0(VALU_DEP_1) | instskip(NEXT) | instid1(VALU_DEP_1)
	v_fmamk_f32 v2, v4, 0x4f800000, v2
	v_rcp_f32_e32 v2, v2
	s_waitcnt_depctr 0xfff
	v_mul_f32_e32 v2, 0x5f7ffffc, v2
	s_delay_alu instid0(VALU_DEP_1) | instskip(NEXT) | instid1(VALU_DEP_1)
	v_mul_f32_e32 v4, 0x2f800000, v2
	v_trunc_f32_e32 v4, v4
	s_delay_alu instid0(VALU_DEP_1) | instskip(SKIP_1) | instid1(VALU_DEP_2)
	v_fmamk_f32 v2, v4, 0xcf800000, v2
	v_cvt_u32_f32_e32 v4, v4
	v_cvt_u32_f32_e32 v2, v2
	s_delay_alu instid0(VALU_DEP_2) | instskip(NEXT) | instid1(VALU_DEP_2)
	v_readfirstlane_b32 s5, v4
	v_readfirstlane_b32 s9, v2
	s_delay_alu instid0(VALU_DEP_2) | instskip(NEXT) | instid1(VALU_DEP_1)
	s_mul_i32 s14, s12, s5
	s_mul_hi_u32 s19, s12, s9
	s_mul_i32 s16, s13, s9
	s_add_i32 s14, s19, s14
	s_mul_i32 s26, s12, s9
	s_add_i32 s14, s14, s16
	s_mul_hi_u32 s19, s9, s26
	s_mul_hi_u32 s27, s5, s26
	s_mul_i32 s16, s5, s26
	s_mul_hi_u32 s26, s9, s14
	s_mul_i32 s9, s9, s14
	s_mul_hi_u32 s28, s5, s14
	s_add_u32 s9, s19, s9
	s_addc_u32 s19, 0, s26
	s_add_u32 s9, s9, s16
	s_mul_i32 s14, s5, s14
	s_addc_u32 s9, s19, s27
	s_addc_u32 s16, s28, 0
	s_add_u32 s9, s9, s14
	s_addc_u32 s14, 0, s16
	v_add_co_u32 v2, s9, v2, s9
	s_delay_alu instid0(VALU_DEP_1) | instskip(SKIP_1) | instid1(VALU_DEP_1)
	s_cmp_lg_u32 s9, 0
	s_addc_u32 s5, s5, s14
	v_readfirstlane_b32 s9, v2
	s_mul_i32 s14, s12, s5
	s_delay_alu instid0(VALU_DEP_1)
	s_mul_hi_u32 s16, s12, s9
	s_mul_i32 s13, s13, s9
	s_add_i32 s14, s16, s14
	s_mul_i32 s12, s12, s9
	s_add_i32 s14, s14, s13
	s_mul_hi_u32 s16, s5, s12
	s_mul_i32 s19, s5, s12
	s_mul_hi_u32 s12, s9, s12
	s_mul_hi_u32 s26, s9, s14
	s_mul_i32 s9, s9, s14
	s_mul_hi_u32 s13, s5, s14
	s_add_u32 s9, s12, s9
	s_addc_u32 s12, 0, s26
	s_add_u32 s9, s9, s19
	s_mul_i32 s14, s5, s14
	s_addc_u32 s9, s12, s16
	s_addc_u32 s12, s13, 0
	s_add_u32 s9, s9, s14
	s_addc_u32 s12, 0, s12
	v_add_co_u32 v2, s9, v2, s9
	s_delay_alu instid0(VALU_DEP_1) | instskip(SKIP_2) | instid1(SALU_CYCLE_1)
	s_cmp_lg_u32 s9, 0
	s_addc_u32 s5, s5, s12
	s_ashr_i32 s12, s7, 31
	s_add_u32 s26, s6, s12
	s_addc_u32 s27, s7, s12
	v_readfirstlane_b32 s7, v2
	s_mov_b32 s13, s12
	s_delay_alu instid0(SALU_CYCLE_1) | instskip(NEXT) | instid1(SALU_CYCLE_1)
	s_xor_b64 s[26:27], s[26:27], s[12:13]
	s_mul_i32 s14, s26, s5
	s_delay_alu instid0(VALU_DEP_1)
	s_mul_hi_u32 s16, s26, s7
	s_mul_hi_u32 s9, s26, s5
	;; [unrolled: 1-line block ×3, first 2 shown]
	s_mul_i32 s7, s27, s7
	s_add_u32 s14, s16, s14
	s_addc_u32 s9, 0, s9
	s_mul_hi_u32 s19, s27, s5
	s_add_u32 s7, s14, s7
	s_mul_i32 s5, s27, s5
	s_addc_u32 s7, s9, s28
	s_addc_u32 s9, s19, 0
	s_add_u32 s5, s7, s5
	s_addc_u32 s7, 0, s9
	s_mul_hi_u32 s9, s2, s5
	s_mul_i32 s7, s2, s7
	s_mul_i32 s16, s2, s5
	;; [unrolled: 1-line block ×3, first 2 shown]
	s_add_i32 s7, s9, s7
	v_sub_co_u32 v2, s9, s26, s16
	s_add_i32 s7, s7, s14
	s_delay_alu instid0(SALU_CYCLE_1) | instskip(SKIP_1) | instid1(VALU_DEP_1)
	s_sub_i32 s14, s27, s7
	s_cmp_lg_u32 s9, 0
	v_sub_co_u32 v4, s16, v2, s2
	s_subb_u32 s14, s14, s3
	s_cmp_lg_u32 s16, 0
	s_subb_u32 s14, s14, 0
	s_delay_alu instid0(VALU_DEP_1)
	v_cmp_le_u32_e32 vcc_lo, s2, v4
	s_cmp_ge_u32 s14, s3
	v_cmp_le_u32_e64 s2, s2, v2
	s_cselect_b32 s16, -1, 0
	s_cmp_eq_u32 s14, s3
	v_cndmask_b32_e64 v4, 0, -1, vcc_lo
	s_cselect_b32 vcc_lo, -1, 0
	s_add_u32 s14, s5, 1
	s_add_u32 s19, s5, 2
	s_cmp_lg_u32 s9, 0
	v_mov_b32_e32 v5, s19
	v_cndmask_b32_e64 v2, 0, -1, s2
	s_subb_u32 s2, s27, s7
	v_cndmask_b32_e32 v4, s16, v4, vcc_lo
	s_cmp_ge_u32 s2, s3
	s_cselect_b32 s7, -1, 0
	s_cmp_eq_u32 s2, s3
	s_cselect_b32 vcc_lo, -1, 0
	s_xor_b64 s[2:3], s[12:13], s[10:11]
	v_cndmask_b32_e32 v2, s7, v2, vcc_lo
	v_cmp_ne_u32_e32 vcc_lo, 0, v4
	v_cndmask_b32_e32 v4, s14, v5, vcc_lo
	s_delay_alu instid0(VALU_DEP_3) | instskip(NEXT) | instid1(VALU_DEP_2)
	v_cmp_ne_u32_e32 vcc_lo, 0, v2
	v_cndmask_b32_e32 v2, s5, v4, vcc_lo
	s_delay_alu instid0(VALU_DEP_1) | instskip(NEXT) | instid1(VALU_DEP_1)
	v_xor_b32_e32 v2, s2, v2
	v_sub_co_u32 v4, vcc_lo, v2, s2
	s_load_b32 s36, s[0:1], 0x6c
	s_and_not1_b32 vcc_lo, exec_lo, s8
	s_cbranch_vccnz .LBB3_9
.LBB3_8:
	v_rcp_iflag_f32_e32 v2, v3
	s_sub_i32 s2, 0, s4
	s_waitcnt_depctr 0xfff
	v_mul_f32_e32 v2, 0x4f7ffffe, v2
	s_delay_alu instid0(VALU_DEP_1) | instskip(NEXT) | instid1(VALU_DEP_1)
	v_cvt_u32_f32_e32 v2, v2
	v_mul_lo_u32 v3, s2, v2
	s_delay_alu instid0(VALU_DEP_1) | instskip(NEXT) | instid1(VALU_DEP_1)
	v_mul_hi_u32 v3, v2, v3
	v_add_nc_u32_e32 v2, v2, v3
	s_delay_alu instid0(VALU_DEP_1) | instskip(NEXT) | instid1(VALU_DEP_1)
	v_mul_hi_u32 v2, s6, v2
	v_mul_lo_u32 v3, v2, s4
	v_add_nc_u32_e32 v4, 1, v2
	s_delay_alu instid0(VALU_DEP_2) | instskip(NEXT) | instid1(VALU_DEP_1)
	v_sub_nc_u32_e32 v3, s6, v3
	v_subrev_nc_u32_e32 v5, s4, v3
	v_cmp_le_u32_e32 vcc_lo, s4, v3
	s_delay_alu instid0(VALU_DEP_2) | instskip(NEXT) | instid1(VALU_DEP_1)
	v_dual_cndmask_b32 v3, v3, v5 :: v_dual_cndmask_b32 v2, v2, v4
	v_cmp_le_u32_e32 vcc_lo, s4, v3
	s_delay_alu instid0(VALU_DEP_2) | instskip(NEXT) | instid1(VALU_DEP_1)
	v_add_nc_u32_e32 v4, 1, v2
	v_cndmask_b32_e32 v4, v2, v4, vcc_lo
.LBB3_9:
	v_bfe_u32 v5, v0, 10, 10
	s_waitcnt lgkmcnt(0)
	s_lshr_b32 s33, s36, 16
	s_mov_b32 s2, exec_lo
	s_delay_alu instid0(VALU_DEP_1) | instskip(NEXT) | instid1(VALU_DEP_1)
	v_mad_u64_u32 v[2:3], null, s15, s33, v[5:6]
	v_cmpx_gt_i32_e64 s20, v2
	s_cbranch_execz .LBB3_53
; %bb.10:
	s_clause 0x1
	s_load_b256 s[4:11], s[0:1], 0x28
	s_load_b128 s[12:15], s[0:1], 0x48
	s_bfe_i64 s[26:27], s[24:25], 0x200000
	s_waitcnt lgkmcnt(0)
	s_or_b64 s[2:3], s[26:27], s[4:5]
	s_mov_b32 s2, 0
	s_delay_alu instid0(SALU_CYCLE_1)
	s_cmp_lg_u64 s[2:3], 0
	s_cbranch_scc0 .LBB3_57
; %bb.11:
	s_ashr_i32 s28, s5, 31
	s_delay_alu instid0(SALU_CYCLE_1) | instskip(SKIP_2) | instid1(SALU_CYCLE_1)
	s_add_u32 s30, s4, s28
	s_mov_b32 s29, s28
	s_addc_u32 s31, s5, s28
	s_xor_b64 s[30:31], s[30:31], s[28:29]
	s_delay_alu instid0(SALU_CYCLE_1) | instskip(SKIP_3) | instid1(VALU_DEP_1)
	v_cvt_f32_u32_e32 v3, s30
	v_cvt_f32_u32_e32 v5, s31
	s_sub_u32 s19, 0, s30
	s_subb_u32 s25, 0, s31
	v_fmamk_f32 v3, v5, 0x4f800000, v3
	s_delay_alu instid0(VALU_DEP_1) | instskip(SKIP_2) | instid1(VALU_DEP_1)
	v_rcp_f32_e32 v3, v3
	s_waitcnt_depctr 0xfff
	v_mul_f32_e32 v3, 0x5f7ffffc, v3
	v_mul_f32_e32 v5, 0x2f800000, v3
	s_delay_alu instid0(VALU_DEP_1) | instskip(NEXT) | instid1(VALU_DEP_1)
	v_trunc_f32_e32 v5, v5
	v_fmamk_f32 v3, v5, 0xcf800000, v3
	v_cvt_u32_f32_e32 v5, v5
	s_delay_alu instid0(VALU_DEP_2) | instskip(NEXT) | instid1(VALU_DEP_2)
	v_cvt_u32_f32_e32 v3, v3
	v_readfirstlane_b32 s3, v5
	s_delay_alu instid0(VALU_DEP_2) | instskip(NEXT) | instid1(VALU_DEP_2)
	v_readfirstlane_b32 s16, v3
	s_mul_i32 s34, s19, s3
	s_delay_alu instid0(VALU_DEP_1)
	s_mul_hi_u32 s37, s19, s16
	s_mul_i32 s35, s25, s16
	s_add_i32 s34, s37, s34
	s_mul_i32 s38, s19, s16
	s_add_i32 s34, s34, s35
	s_mul_hi_u32 s37, s16, s38
	s_mul_hi_u32 s39, s3, s38
	s_mul_i32 s35, s3, s38
	s_mul_hi_u32 s38, s16, s34
	s_mul_i32 s16, s16, s34
	s_mul_hi_u32 s40, s3, s34
	s_add_u32 s16, s37, s16
	s_addc_u32 s37, 0, s38
	s_add_u32 s16, s16, s35
	s_mul_i32 s34, s3, s34
	s_addc_u32 s16, s37, s39
	s_addc_u32 s35, s40, 0
	s_add_u32 s16, s16, s34
	s_addc_u32 s34, 0, s35
	v_add_co_u32 v3, s16, v3, s16
	s_delay_alu instid0(VALU_DEP_1) | instskip(SKIP_1) | instid1(VALU_DEP_1)
	s_cmp_lg_u32 s16, 0
	s_addc_u32 s3, s3, s34
	v_readfirstlane_b32 s16, v3
	s_mul_i32 s35, s19, s3
	s_mov_b32 s34, s27
	s_delay_alu instid0(VALU_DEP_1)
	s_mul_hi_u32 s37, s19, s16
	s_mul_i32 s25, s25, s16
	s_add_i32 s35, s37, s35
	s_mul_i32 s19, s19, s16
	s_add_i32 s35, s35, s25
	s_mul_hi_u32 s37, s3, s19
	s_mul_i32 s38, s3, s19
	s_mul_hi_u32 s19, s16, s19
	s_mul_hi_u32 s39, s16, s35
	s_mul_i32 s16, s16, s35
	s_mul_hi_u32 s25, s3, s35
	s_add_u32 s16, s19, s16
	s_addc_u32 s19, 0, s39
	s_add_u32 s16, s16, s38
	s_mul_i32 s35, s3, s35
	s_addc_u32 s16, s19, s37
	s_addc_u32 s19, s25, 0
	s_add_u32 s16, s16, s35
	s_addc_u32 s19, 0, s19
	v_add_co_u32 v3, s16, v3, s16
	s_delay_alu instid0(VALU_DEP_1)
	s_cmp_lg_u32 s16, 0
	s_mov_b32 s35, s27
	s_addc_u32 s3, s3, s19
	s_add_u32 s38, s26, s27
	v_readfirstlane_b32 s16, v3
	s_addc_u32 s39, s27, s27
	s_delay_alu instid0(SALU_CYCLE_1) | instskip(NEXT) | instid1(SALU_CYCLE_1)
	s_xor_b64 s[38:39], s[38:39], s[34:35]
	s_mul_i32 s25, s38, s3
	s_delay_alu instid0(VALU_DEP_1)
	s_mul_hi_u32 s37, s38, s16
	s_mul_hi_u32 s19, s38, s3
	;; [unrolled: 1-line block ×3, first 2 shown]
	s_mul_i32 s16, s39, s16
	s_add_u32 s25, s37, s25
	s_addc_u32 s19, 0, s19
	s_mul_hi_u32 s40, s39, s3
	s_add_u32 s16, s25, s16
	s_mul_i32 s3, s39, s3
	s_addc_u32 s16, s19, s41
	s_addc_u32 s19, s40, 0
	s_add_u32 s3, s16, s3
	s_addc_u32 s16, 0, s19
	s_mul_hi_u32 s19, s30, s3
	s_mul_i32 s37, s30, s16
	s_mul_i32 s40, s30, s3
	s_add_i32 s19, s19, s37
	v_sub_co_u32 v3, s37, s38, s40
	s_mul_i32 s25, s31, s3
	s_delay_alu instid0(SALU_CYCLE_1) | instskip(NEXT) | instid1(VALU_DEP_1)
	s_add_i32 s19, s19, s25
	v_sub_co_u32 v5, s38, v3, s30
	s_sub_i32 s25, s39, s19
	s_cmp_lg_u32 s37, 0
	s_subb_u32 s25, s25, s31
	s_cmp_lg_u32 s38, 0
	v_readfirstlane_b32 s38, v5
	s_subb_u32 s25, s25, 0
	s_delay_alu instid0(SALU_CYCLE_1) | instskip(SKIP_1) | instid1(VALU_DEP_1)
	s_cmp_ge_u32 s25, s31
	s_cselect_b32 s40, -1, 0
	s_cmp_ge_u32 s38, s30
	s_cselect_b32 s38, -1, 0
	s_cmp_eq_u32 s25, s31
	s_cselect_b32 s25, s38, s40
	s_add_u32 s38, s3, 1
	s_addc_u32 s40, s16, 0
	s_add_u32 s41, s3, 2
	s_addc_u32 s42, s16, 0
	s_cmp_lg_u32 s25, 0
	s_cselect_b32 s25, s41, s38
	s_cselect_b32 s38, s42, s40
	s_cmp_lg_u32 s37, 0
	v_readfirstlane_b32 s37, v3
	s_subb_u32 s19, s39, s19
	s_delay_alu instid0(SALU_CYCLE_1) | instskip(SKIP_1) | instid1(VALU_DEP_1)
	s_cmp_ge_u32 s19, s31
	s_cselect_b32 s39, -1, 0
	s_cmp_ge_u32 s37, s30
	s_cselect_b32 s30, -1, 0
	s_cmp_eq_u32 s19, s31
	s_cselect_b32 s19, s30, s39
	s_delay_alu instid0(SALU_CYCLE_1) | instskip(SKIP_3) | instid1(SALU_CYCLE_1)
	s_cmp_lg_u32 s19, 0
	s_cselect_b32 s31, s38, s16
	s_cselect_b32 s30, s25, s3
	s_xor_b64 s[28:29], s[34:35], s[28:29]
	s_xor_b64 s[30:31], s[30:31], s[28:29]
	s_delay_alu instid0(SALU_CYCLE_1)
	s_sub_u32 s28, s30, s28
	s_subb_u32 s29, s31, s29
	s_load_b32 s31, s[0:1], 0x64
	s_and_not1_b32 vcc_lo, exec_lo, s2
	s_cbranch_vccnz .LBB3_13
.LBB3_12:
	v_cvt_f32_u32_e32 v3, s4
	s_sub_i32 s3, 0, s4
	s_mov_b32 s29, 0
	s_delay_alu instid0(VALU_DEP_1) | instskip(SKIP_2) | instid1(VALU_DEP_1)
	v_rcp_iflag_f32_e32 v3, v3
	s_waitcnt_depctr 0xfff
	v_mul_f32_e32 v3, 0x4f7ffffe, v3
	v_cvt_u32_f32_e32 v3, v3
	s_delay_alu instid0(VALU_DEP_1) | instskip(NEXT) | instid1(VALU_DEP_1)
	v_readfirstlane_b32 s2, v3
	s_mul_i32 s3, s3, s2
	s_delay_alu instid0(SALU_CYCLE_1) | instskip(NEXT) | instid1(SALU_CYCLE_1)
	s_mul_hi_u32 s3, s2, s3
	s_add_i32 s2, s2, s3
	s_delay_alu instid0(SALU_CYCLE_1) | instskip(NEXT) | instid1(SALU_CYCLE_1)
	s_mul_hi_u32 s2, s24, s2
	s_mul_i32 s3, s2, s4
	s_add_i32 s16, s2, 1
	s_sub_i32 s3, s24, s3
	s_delay_alu instid0(SALU_CYCLE_1)
	s_sub_i32 s19, s3, s4
	s_cmp_ge_u32 s3, s4
	s_cselect_b32 s2, s16, s2
	s_cselect_b32 s3, s19, s3
	s_add_i32 s16, s2, 1
	s_cmp_ge_u32 s3, s4
	s_cselect_b32 s28, s16, s2
.LBB3_13:
	s_load_b128 s[0:3], s[0:1], 0x0
	s_mul_i32 s25, s21, s20
	s_mul_hi_i32 s24, s21, s20
	s_mul_i32 s30, s28, s5
	s_mul_i32 s5, s25, s23
	s_mul_hi_u32 s23, s25, s22
	s_mul_i32 s24, s24, s22
	s_add_i32 s5, s23, s5
	s_mul_i32 s22, s25, s22
	s_add_i32 s23, s5, s24
	s_mul_hi_u32 s34, s28, s4
	s_mul_i32 s35, s29, s4
	s_mul_i32 s25, s28, s4
	s_lshl_b64 s[4:5], s[22:23], 1
	s_ashr_i32 s16, s20, 31
	s_ashr_i32 s19, s21, 31
	s_mul_i32 s7, s28, s7
	v_sub_nc_u32_e32 v8, v4, v1
	v_and_b32_e32 v0, 0x3ff, v0
	s_waitcnt lgkmcnt(0)
	s_mul_i32 s31, s31, s33
	s_add_u32 s22, s2, s4
	s_addc_u32 s23, s3, s5
	s_add_i32 s2, s34, s30
	s_and_b32 s24, s36, 0xffff
	s_add_i32 s2, s2, s35
	s_sub_u32 s4, s26, s25
	s_subb_u32 s5, s27, s2
	s_mul_hi_u32 s27, s28, s6
	s_bfe_i64 s[2:3], s[28:29], 0x200000
	s_add_i32 s2, s27, s7
	s_mul_i32 s3, s3, s6
	s_mul_i32 s7, s4, s9
	s_mul_hi_u32 s9, s4, s8
	s_add_i32 s3, s2, s3
	s_mul_i32 s2, s28, s6
	s_add_i32 s7, s9, s7
	s_mul_i32 s5, s5, s8
	s_lshl_b64 s[2:3], s[2:3], 1
	s_ashr_i32 s25, s17, 31
	s_ashr_i32 s26, s18, 31
	s_add_i32 s5, s7, s5
	s_mul_i32 s4, s4, s8
	s_add_u32 s2, s0, s2
	s_addc_u32 s3, s1, s3
	s_lshl_b64 s[0:1], s[4:5], 1
	s_mov_b32 s8, s20
	s_add_u32 s9, s2, s0
	s_addc_u32 s27, s3, s1
	s_ashr_i32 s28, s20, 31
	v_cvt_f32_u32_e32 v5, s8
	s_add_i32 s0, s20, s28
	v_mov_b32_e32 v4, 0
	s_xor_b32 s29, s0, s28
	s_sub_i32 s1, 0, s20
	v_cvt_f32_u32_e32 v3, s29
	v_rcp_iflag_f32_e32 v5, v5
	s_sub_i32 s0, 0, s29
	s_mov_b32 s30, s21
	v_add_nc_u32_e32 v12, 1, v8
	v_rcp_iflag_f32_e32 v3, v3
	s_mov_b32 s33, 0
	s_delay_alu instid0(VALU_DEP_1) | instskip(SKIP_3) | instid1(VALU_DEP_2)
	v_max_i32_e32 v13, 1, v12
	s_waitcnt_depctr 0xfff
	v_mul_f32_e32 v5, 0x4f7ffffe, v5
	v_mul_f32_e32 v3, 0x4f7ffffe, v3
	v_cvt_u32_f32_e32 v5, v5
	s_delay_alu instid0(VALU_DEP_2) | instskip(NEXT) | instid1(VALU_DEP_2)
	v_cvt_u32_f32_e32 v3, v3
	v_mul_lo_u32 v7, s1, v5
	v_cmp_gt_u32_e64 s1, 0x7fffffff, v8
	s_delay_alu instid0(VALU_DEP_3) | instskip(SKIP_1) | instid1(VALU_DEP_4)
	v_mul_lo_u32 v6, s0, v3
	v_cmp_gt_i32_e64 s0, s21, v0
	v_mul_hi_u32 v7, v5, v7
	s_delay_alu instid0(VALU_DEP_3) | instskip(NEXT) | instid1(VALU_DEP_2)
	v_mul_hi_u32 v6, v3, v6
	v_add_nc_u32_e32 v15, v5, v7
	s_delay_alu instid0(VALU_DEP_2)
	v_add_nc_u32_e32 v14, v3, v6
	s_branch .LBB3_15
.LBB3_14:                               ;   in Loop: Header=BB3_15 Depth=1
	s_or_b32 exec_lo, exec_lo, s34
	v_add_nc_u32_e32 v2, s31, v2
	s_delay_alu instid0(VALU_DEP_1) | instskip(SKIP_1) | instid1(SALU_CYCLE_1)
	v_cmp_le_i32_e32 vcc_lo, s20, v2
	s_or_b32 s33, vcc_lo, s33
	s_and_not1_b32 exec_lo, exec_lo, s33
	s_cbranch_execz .LBB3_53
.LBB3_15:                               ; =>This Loop Header: Depth=1
                                        ;     Child Loop BB3_30 Depth 2
                                        ;       Child Loop BB3_46 Depth 3
                                        ;         Child Loop BB3_49 Depth 4
                                        ;           Child Loop BB3_51 Depth 5
	v_ashrrev_i32_e32 v10, 31, v2
	v_mov_b32_e32 v5, v4
	s_mov_b32 s2, exec_lo
                                        ; implicit-def: $vgpr7_vgpr8
	s_delay_alu instid0(VALU_DEP_2) | instskip(NEXT) | instid1(VALU_DEP_1)
	v_or_b32_e32 v6, s16, v10
	v_cmpx_ne_u64_e32 0, v[5:6]
	s_xor_b32 s2, exec_lo, s2
	s_cbranch_execz .LBB3_17
; %bb.16:                               ;   in Loop: Header=BB3_15 Depth=1
	v_ashrrev_i32_e32 v3, 31, v2
	s_delay_alu instid0(VALU_DEP_1) | instskip(NEXT) | instid1(VALU_DEP_1)
	v_add_nc_u32_e32 v5, v2, v3
	v_xor_b32_e32 v5, v5, v3
	v_xor_b32_e32 v3, s28, v3
	s_delay_alu instid0(VALU_DEP_2) | instskip(NEXT) | instid1(VALU_DEP_1)
	v_mul_hi_u32 v6, v5, v14
	v_mul_lo_u32 v7, v6, s29
	s_delay_alu instid0(VALU_DEP_1) | instskip(SKIP_1) | instid1(VALU_DEP_2)
	v_sub_nc_u32_e32 v5, v5, v7
	v_add_nc_u32_e32 v7, 1, v6
	v_subrev_nc_u32_e32 v8, s29, v5
	v_cmp_le_u32_e32 vcc_lo, s29, v5
	s_delay_alu instid0(VALU_DEP_2) | instskip(NEXT) | instid1(VALU_DEP_1)
	v_dual_cndmask_b32 v5, v5, v8 :: v_dual_cndmask_b32 v6, v6, v7
	v_cmp_le_u32_e32 vcc_lo, s29, v5
	s_delay_alu instid0(VALU_DEP_2) | instskip(NEXT) | instid1(VALU_DEP_1)
	v_add_nc_u32_e32 v7, 1, v6
	v_cndmask_b32_e32 v5, v6, v7, vcc_lo
	s_delay_alu instid0(VALU_DEP_1) | instskip(NEXT) | instid1(VALU_DEP_1)
	v_xor_b32_e32 v5, v5, v3
	v_sub_nc_u32_e32 v7, v5, v3
	s_delay_alu instid0(VALU_DEP_1)
	v_ashrrev_i32_e32 v8, 31, v7
.LBB3_17:                               ;   in Loop: Header=BB3_15 Depth=1
	s_and_not1_saveexec_b32 s2, s2
	s_cbranch_execz .LBB3_19
; %bb.18:                               ;   in Loop: Header=BB3_15 Depth=1
	v_mul_hi_u32 v3, v2, v15
	s_delay_alu instid0(VALU_DEP_1) | instskip(SKIP_1) | instid1(VALU_DEP_2)
	v_mul_lo_u32 v5, v3, s8
	v_add_nc_u32_e32 v6, 1, v3
	v_sub_nc_u32_e32 v5, v2, v5
	s_delay_alu instid0(VALU_DEP_1) | instskip(SKIP_1) | instid1(VALU_DEP_2)
	v_subrev_nc_u32_e32 v7, s8, v5
	v_cmp_le_u32_e32 vcc_lo, s8, v5
	v_cndmask_b32_e32 v5, v5, v7, vcc_lo
	v_cndmask_b32_e32 v3, v3, v6, vcc_lo
	s_delay_alu instid0(VALU_DEP_2) | instskip(NEXT) | instid1(VALU_DEP_2)
	v_cmp_le_u32_e32 vcc_lo, s8, v5
	v_add_nc_u32_e32 v6, 1, v3
	s_delay_alu instid0(VALU_DEP_1) | instskip(NEXT) | instid1(VALU_DEP_1)
	v_cndmask_b32_e32 v3, v3, v6, vcc_lo
	v_dual_mov_b32 v8, v4 :: v_dual_mov_b32 v7, v3
.LBB3_19:                               ;   in Loop: Header=BB3_15 Depth=1
	s_or_b32 exec_lo, exec_lo, s2
	s_delay_alu instid0(VALU_DEP_1) | instskip(NEXT) | instid1(VALU_DEP_2)
	v_mul_lo_u32 v3, v8, s8
	v_mul_lo_u32 v8, v7, s16
	v_mad_u64_u32 v[5:6], null, v7, s8, 0
	s_delay_alu instid0(VALU_DEP_1) | instskip(NEXT) | instid1(VALU_DEP_2)
	v_add3_u32 v3, v6, v8, v3
	v_sub_co_u32 v8, vcc_lo, v2, v5
	s_delay_alu instid0(VALU_DEP_2) | instskip(NEXT) | instid1(VALU_DEP_2)
	v_sub_co_ci_u32_e32 v3, vcc_lo, v10, v3, vcc_lo
	v_mul_lo_u32 v9, v8, s25
	v_mad_u64_u32 v[5:6], null, v8, s17, 0
	s_delay_alu instid0(VALU_DEP_3) | instskip(SKIP_1) | instid1(VALU_DEP_2)
	v_mul_lo_u32 v3, v3, s17
	v_mov_b32_e32 v8, v4
	v_add3_u32 v6, v6, v9, v3
	s_delay_alu instid0(VALU_DEP_1) | instskip(NEXT) | instid1(VALU_DEP_1)
	v_or_b32_e32 v9, s16, v6
	v_cmp_ne_u64_e32 vcc_lo, 0, v[8:9]
                                        ; implicit-def: $vgpr8_vgpr9
	s_and_saveexec_b32 s2, vcc_lo
	s_delay_alu instid0(SALU_CYCLE_1)
	s_xor_b32 s3, exec_lo, s2
	s_cbranch_execz .LBB3_21
; %bb.20:                               ;   in Loop: Header=BB3_15 Depth=1
	s_add_u32 s6, s8, s16
	s_mov_b32 s4, s16
	s_mov_b32 s5, s16
	s_addc_u32 s7, s16, s16
	s_delay_alu instid0(SALU_CYCLE_1) | instskip(NEXT) | instid1(SALU_CYCLE_1)
	s_xor_b64 s[6:7], s[6:7], s[4:5]
	v_cvt_f32_u32_e32 v3, s6
	v_cvt_f32_u32_e32 v8, s7
	s_sub_u32 s2, 0, s6
	s_subb_u32 s5, 0, s7
	s_delay_alu instid0(VALU_DEP_1) | instskip(NEXT) | instid1(VALU_DEP_1)
	v_fmac_f32_e32 v3, 0x4f800000, v8
	v_rcp_f32_e32 v3, v3
	s_waitcnt_depctr 0xfff
	v_mul_f32_e32 v3, 0x5f7ffffc, v3
	s_delay_alu instid0(VALU_DEP_1) | instskip(NEXT) | instid1(VALU_DEP_1)
	v_mul_f32_e32 v8, 0x2f800000, v3
	v_trunc_f32_e32 v8, v8
	s_delay_alu instid0(VALU_DEP_1) | instskip(SKIP_1) | instid1(VALU_DEP_2)
	v_fmac_f32_e32 v3, 0xcf800000, v8
	v_cvt_u32_f32_e32 v8, v8
	v_cvt_u32_f32_e32 v3, v3
	s_delay_alu instid0(VALU_DEP_2) | instskip(NEXT) | instid1(VALU_DEP_2)
	v_mul_lo_u32 v9, s2, v8
	v_mul_hi_u32 v11, s2, v3
	v_mul_lo_u32 v16, s5, v3
	s_delay_alu instid0(VALU_DEP_2) | instskip(SKIP_1) | instid1(VALU_DEP_2)
	v_add_nc_u32_e32 v9, v11, v9
	v_mul_lo_u32 v11, s2, v3
	v_add_nc_u32_e32 v9, v9, v16
	s_delay_alu instid0(VALU_DEP_2) | instskip(NEXT) | instid1(VALU_DEP_2)
	v_mul_hi_u32 v16, v3, v11
	v_mul_lo_u32 v17, v3, v9
	v_mul_hi_u32 v18, v3, v9
	v_mul_hi_u32 v19, v8, v11
	v_mul_lo_u32 v11, v8, v11
	v_mul_hi_u32 v20, v8, v9
	v_mul_lo_u32 v9, v8, v9
	v_add_co_u32 v16, vcc_lo, v16, v17
	v_add_co_ci_u32_e32 v17, vcc_lo, 0, v18, vcc_lo
	s_delay_alu instid0(VALU_DEP_2) | instskip(NEXT) | instid1(VALU_DEP_2)
	v_add_co_u32 v11, vcc_lo, v16, v11
	v_add_co_ci_u32_e32 v11, vcc_lo, v17, v19, vcc_lo
	v_add_co_ci_u32_e32 v16, vcc_lo, 0, v20, vcc_lo
	v_ashrrev_i32_e32 v19, 31, v6
	s_delay_alu instid0(VALU_DEP_3) | instskip(NEXT) | instid1(VALU_DEP_3)
	v_add_co_u32 v9, vcc_lo, v11, v9
	v_add_co_ci_u32_e32 v11, vcc_lo, 0, v16, vcc_lo
	s_delay_alu instid0(VALU_DEP_2) | instskip(NEXT) | instid1(VALU_DEP_2)
	v_add_co_u32 v3, vcc_lo, v3, v9
	v_add_co_ci_u32_e32 v8, vcc_lo, v8, v11, vcc_lo
	s_delay_alu instid0(VALU_DEP_2) | instskip(SKIP_1) | instid1(VALU_DEP_3)
	v_mul_hi_u32 v9, s2, v3
	v_mul_lo_u32 v16, s5, v3
	v_mul_lo_u32 v11, s2, v8
	s_delay_alu instid0(VALU_DEP_1) | instskip(SKIP_1) | instid1(VALU_DEP_2)
	v_add_nc_u32_e32 v9, v9, v11
	v_mul_lo_u32 v11, s2, v3
	v_add_nc_u32_e32 v9, v9, v16
	s_delay_alu instid0(VALU_DEP_2) | instskip(NEXT) | instid1(VALU_DEP_2)
	v_mul_hi_u32 v16, v3, v11
	v_mul_lo_u32 v17, v3, v9
	v_mul_hi_u32 v18, v3, v9
	v_mul_hi_u32 v20, v8, v11
	v_mul_lo_u32 v11, v8, v11
	v_mul_hi_u32 v21, v8, v9
	v_mul_lo_u32 v9, v8, v9
	v_add_co_u32 v16, vcc_lo, v16, v17
	v_add_co_ci_u32_e32 v17, vcc_lo, 0, v18, vcc_lo
	s_delay_alu instid0(VALU_DEP_2) | instskip(NEXT) | instid1(VALU_DEP_2)
	v_add_co_u32 v11, vcc_lo, v16, v11
	v_add_co_ci_u32_e32 v11, vcc_lo, v17, v20, vcc_lo
	v_add_co_ci_u32_e32 v16, vcc_lo, 0, v21, vcc_lo
	v_add_co_u32 v5, vcc_lo, v5, v19
	v_add_co_ci_u32_e32 v6, vcc_lo, v6, v19, vcc_lo
	s_delay_alu instid0(VALU_DEP_4) | instskip(NEXT) | instid1(VALU_DEP_4)
	v_add_co_u32 v9, vcc_lo, v11, v9
	v_add_co_ci_u32_e32 v11, vcc_lo, 0, v16, vcc_lo
	s_delay_alu instid0(VALU_DEP_4) | instskip(NEXT) | instid1(VALU_DEP_3)
	v_xor_b32_e32 v18, v5, v19
	v_add_co_u32 v3, vcc_lo, v3, v9
	s_delay_alu instid0(VALU_DEP_3) | instskip(SKIP_1) | instid1(VALU_DEP_3)
	v_add_co_ci_u32_e32 v11, vcc_lo, v8, v11, vcc_lo
	v_xor_b32_e32 v20, v6, v19
	v_mul_hi_u32 v21, v18, v3
	s_delay_alu instid0(VALU_DEP_3) | instskip(NEXT) | instid1(VALU_DEP_3)
	v_mad_u64_u32 v[5:6], null, v18, v11, 0
	v_mad_u64_u32 v[8:9], null, v20, v3, 0
	;; [unrolled: 1-line block ×3, first 2 shown]
	s_delay_alu instid0(VALU_DEP_3) | instskip(NEXT) | instid1(VALU_DEP_4)
	v_add_co_u32 v3, vcc_lo, v21, v5
	v_add_co_ci_u32_e32 v5, vcc_lo, 0, v6, vcc_lo
	s_delay_alu instid0(VALU_DEP_2) | instskip(NEXT) | instid1(VALU_DEP_2)
	v_add_co_u32 v3, vcc_lo, v3, v8
	v_add_co_ci_u32_e32 v3, vcc_lo, v5, v9, vcc_lo
	v_add_co_ci_u32_e32 v5, vcc_lo, 0, v17, vcc_lo
	s_delay_alu instid0(VALU_DEP_2) | instskip(NEXT) | instid1(VALU_DEP_2)
	v_add_co_u32 v3, vcc_lo, v3, v16
	v_add_co_ci_u32_e32 v8, vcc_lo, 0, v5, vcc_lo
	s_delay_alu instid0(VALU_DEP_2) | instskip(SKIP_1) | instid1(VALU_DEP_3)
	v_mul_lo_u32 v9, s7, v3
	v_mad_u64_u32 v[5:6], null, s6, v3, 0
	v_mul_lo_u32 v8, s6, v8
	s_delay_alu instid0(VALU_DEP_2) | instskip(NEXT) | instid1(VALU_DEP_2)
	v_sub_co_u32 v5, vcc_lo, v18, v5
	v_add3_u32 v6, v6, v8, v9
	v_add_co_u32 v9, s2, v3, 2
	s_delay_alu instid0(VALU_DEP_2) | instskip(NEXT) | instid1(VALU_DEP_1)
	v_sub_nc_u32_e32 v8, v20, v6
	v_subrev_co_ci_u32_e64 v8, s2, s7, v8, vcc_lo
	v_sub_co_u32 v11, s2, v5, s6
	v_sub_co_ci_u32_e32 v6, vcc_lo, v20, v6, vcc_lo
	s_delay_alu instid0(VALU_DEP_3) | instskip(NEXT) | instid1(VALU_DEP_3)
	v_subrev_co_ci_u32_e64 v8, s2, 0, v8, s2
	v_cmp_le_u32_e32 vcc_lo, s6, v11
	v_cndmask_b32_e64 v11, 0, -1, vcc_lo
	s_delay_alu instid0(VALU_DEP_3)
	v_cmp_le_u32_e32 vcc_lo, s7, v8
	v_cndmask_b32_e64 v16, 0, -1, vcc_lo
	v_cmp_le_u32_e32 vcc_lo, s6, v5
	v_cndmask_b32_e64 v5, 0, -1, vcc_lo
	;; [unrolled: 2-line block ×3, first 2 shown]
	v_cmp_eq_u32_e32 vcc_lo, s7, v8
	v_cndmask_b32_e32 v8, v16, v11, vcc_lo
	v_add_co_u32 v11, vcc_lo, v3, 1
	v_cmp_eq_u32_e32 vcc_lo, s7, v6
	v_cndmask_b32_e32 v5, v17, v5, vcc_lo
	s_delay_alu instid0(VALU_DEP_4) | instskip(NEXT) | instid1(VALU_DEP_4)
	v_cmp_ne_u32_e32 vcc_lo, 0, v8
	v_cndmask_b32_e32 v6, v11, v9, vcc_lo
	s_delay_alu instid0(VALU_DEP_3) | instskip(SKIP_1) | instid1(VALU_DEP_3)
	v_cmp_ne_u32_e32 vcc_lo, 0, v5
	v_xor_b32_e32 v5, s4, v19
	v_cndmask_b32_e32 v3, v3, v6, vcc_lo
	s_delay_alu instid0(VALU_DEP_1) | instskip(NEXT) | instid1(VALU_DEP_1)
	v_xor_b32_e32 v3, v3, v5
	v_sub_co_u32 v8, vcc_lo, v3, v5
                                        ; implicit-def: $vgpr5_vgpr6
.LBB3_21:                               ;   in Loop: Header=BB3_15 Depth=1
	s_and_not1_saveexec_b32 s2, s3
; %bb.22:                               ;   in Loop: Header=BB3_15 Depth=1
	v_mul_hi_u32 v3, v5, v15
	s_delay_alu instid0(VALU_DEP_1) | instskip(NEXT) | instid1(VALU_DEP_1)
	v_mul_lo_u32 v6, v3, s8
	v_sub_nc_u32_e32 v5, v5, v6
	s_delay_alu instid0(VALU_DEP_1) | instskip(SKIP_1) | instid1(VALU_DEP_2)
	v_subrev_nc_u32_e32 v8, s8, v5
	v_cmp_le_u32_e32 vcc_lo, s8, v5
	v_dual_cndmask_b32 v5, v5, v8 :: v_dual_add_nc_u32 v6, 1, v3
	s_delay_alu instid0(VALU_DEP_1) | instskip(NEXT) | instid1(VALU_DEP_2)
	v_cndmask_b32_e32 v3, v3, v6, vcc_lo
	v_cmp_le_u32_e32 vcc_lo, s8, v5
	s_delay_alu instid0(VALU_DEP_2) | instskip(NEXT) | instid1(VALU_DEP_1)
	v_add_nc_u32_e32 v6, 1, v3
	v_cndmask_b32_e32 v8, v3, v6, vcc_lo
; %bb.23:                               ;   in Loop: Header=BB3_15 Depth=1
	s_or_b32 exec_lo, exec_lo, s2
	v_add_co_u32 v3, vcc_lo, v2, 1
	v_add_co_ci_u32_e32 v5, vcc_lo, 0, v10, vcc_lo
	s_delay_alu instid0(VALU_DEP_2) | instskip(NEXT) | instid1(VALU_DEP_2)
	v_mul_lo_u32 v9, v3, s25
	v_mul_lo_u32 v10, v5, s17
	v_mad_u64_u32 v[5:6], null, v3, s17, -1
	s_delay_alu instid0(VALU_DEP_1) | instskip(SKIP_1) | instid1(VALU_DEP_2)
	v_add3_u32 v6, v10, v6, v9
	v_mov_b32_e32 v9, v4
	v_or_b32_e32 v10, s16, v6
	s_delay_alu instid0(VALU_DEP_1) | instskip(SKIP_1) | instid1(SALU_CYCLE_1)
	v_cmp_ne_u64_e32 vcc_lo, 0, v[9:10]
                                        ; implicit-def: $vgpr9_vgpr10
	s_and_saveexec_b32 s2, vcc_lo
	s_xor_b32 s3, exec_lo, s2
	s_cbranch_execnz .LBB3_26
; %bb.24:                               ;   in Loop: Header=BB3_15 Depth=1
	s_and_not1_saveexec_b32 s2, s3
	s_cbranch_execnz .LBB3_27
.LBB3_25:                               ;   in Loop: Header=BB3_15 Depth=1
	s_or_b32 exec_lo, exec_lo, s2
	s_and_saveexec_b32 s34, s0
	s_cbranch_execz .LBB3_14
	s_branch .LBB3_28
.LBB3_26:                               ;   in Loop: Header=BB3_15 Depth=1
	s_add_u32 s6, s8, s16
	s_mov_b32 s4, s16
	s_mov_b32 s5, s16
	s_addc_u32 s7, s16, s16
	s_delay_alu instid0(SALU_CYCLE_1) | instskip(NEXT) | instid1(SALU_CYCLE_1)
	s_xor_b64 s[6:7], s[6:7], s[4:5]
	v_cvt_f32_u32_e32 v3, s6
	v_cvt_f32_u32_e32 v9, s7
	s_sub_u32 s2, 0, s6
	s_subb_u32 s5, 0, s7
	s_delay_alu instid0(VALU_DEP_1) | instskip(NEXT) | instid1(VALU_DEP_1)
	v_fmac_f32_e32 v3, 0x4f800000, v9
	v_rcp_f32_e32 v3, v3
	s_waitcnt_depctr 0xfff
	v_mul_f32_e32 v3, 0x5f7ffffc, v3
	s_delay_alu instid0(VALU_DEP_1) | instskip(NEXT) | instid1(VALU_DEP_1)
	v_mul_f32_e32 v9, 0x2f800000, v3
	v_trunc_f32_e32 v9, v9
	s_delay_alu instid0(VALU_DEP_1) | instskip(SKIP_1) | instid1(VALU_DEP_2)
	v_fmac_f32_e32 v3, 0xcf800000, v9
	v_cvt_u32_f32_e32 v9, v9
	v_cvt_u32_f32_e32 v3, v3
	s_delay_alu instid0(VALU_DEP_2) | instskip(NEXT) | instid1(VALU_DEP_2)
	v_mul_lo_u32 v10, s2, v9
	v_mul_hi_u32 v11, s2, v3
	v_mul_lo_u32 v16, s5, v3
	s_delay_alu instid0(VALU_DEP_2) | instskip(SKIP_1) | instid1(VALU_DEP_2)
	v_add_nc_u32_e32 v10, v11, v10
	v_mul_lo_u32 v11, s2, v3
	v_add_nc_u32_e32 v10, v10, v16
	s_delay_alu instid0(VALU_DEP_2) | instskip(NEXT) | instid1(VALU_DEP_2)
	v_mul_hi_u32 v16, v3, v11
	v_mul_lo_u32 v17, v3, v10
	v_mul_hi_u32 v18, v3, v10
	v_mul_hi_u32 v19, v9, v11
	v_mul_lo_u32 v11, v9, v11
	v_mul_hi_u32 v20, v9, v10
	v_mul_lo_u32 v10, v9, v10
	v_add_co_u32 v16, vcc_lo, v16, v17
	v_add_co_ci_u32_e32 v17, vcc_lo, 0, v18, vcc_lo
	s_delay_alu instid0(VALU_DEP_2) | instskip(NEXT) | instid1(VALU_DEP_2)
	v_add_co_u32 v11, vcc_lo, v16, v11
	v_add_co_ci_u32_e32 v11, vcc_lo, v17, v19, vcc_lo
	v_add_co_ci_u32_e32 v16, vcc_lo, 0, v20, vcc_lo
	v_ashrrev_i32_e32 v19, 31, v6
	s_delay_alu instid0(VALU_DEP_3) | instskip(NEXT) | instid1(VALU_DEP_3)
	v_add_co_u32 v10, vcc_lo, v11, v10
	v_add_co_ci_u32_e32 v11, vcc_lo, 0, v16, vcc_lo
	s_delay_alu instid0(VALU_DEP_2) | instskip(NEXT) | instid1(VALU_DEP_2)
	v_add_co_u32 v3, vcc_lo, v3, v10
	v_add_co_ci_u32_e32 v9, vcc_lo, v9, v11, vcc_lo
	s_delay_alu instid0(VALU_DEP_2) | instskip(SKIP_1) | instid1(VALU_DEP_3)
	v_mul_hi_u32 v10, s2, v3
	v_mul_lo_u32 v16, s5, v3
	v_mul_lo_u32 v11, s2, v9
	s_delay_alu instid0(VALU_DEP_1) | instskip(SKIP_1) | instid1(VALU_DEP_2)
	v_add_nc_u32_e32 v10, v10, v11
	v_mul_lo_u32 v11, s2, v3
	v_add_nc_u32_e32 v10, v10, v16
	s_delay_alu instid0(VALU_DEP_2) | instskip(NEXT) | instid1(VALU_DEP_2)
	v_mul_hi_u32 v16, v3, v11
	v_mul_lo_u32 v17, v3, v10
	v_mul_hi_u32 v18, v3, v10
	v_mul_hi_u32 v20, v9, v11
	v_mul_lo_u32 v11, v9, v11
	v_mul_hi_u32 v21, v9, v10
	v_mul_lo_u32 v10, v9, v10
	v_add_co_u32 v16, vcc_lo, v16, v17
	v_add_co_ci_u32_e32 v17, vcc_lo, 0, v18, vcc_lo
	s_delay_alu instid0(VALU_DEP_2) | instskip(NEXT) | instid1(VALU_DEP_2)
	v_add_co_u32 v11, vcc_lo, v16, v11
	v_add_co_ci_u32_e32 v11, vcc_lo, v17, v20, vcc_lo
	v_add_co_ci_u32_e32 v16, vcc_lo, 0, v21, vcc_lo
	v_add_co_u32 v5, vcc_lo, v5, v19
	v_add_co_ci_u32_e32 v6, vcc_lo, v6, v19, vcc_lo
	s_delay_alu instid0(VALU_DEP_4) | instskip(NEXT) | instid1(VALU_DEP_4)
	v_add_co_u32 v10, vcc_lo, v11, v10
	v_add_co_ci_u32_e32 v11, vcc_lo, 0, v16, vcc_lo
	s_delay_alu instid0(VALU_DEP_4) | instskip(NEXT) | instid1(VALU_DEP_3)
	v_xor_b32_e32 v18, v5, v19
	v_add_co_u32 v3, vcc_lo, v3, v10
	s_delay_alu instid0(VALU_DEP_3) | instskip(SKIP_1) | instid1(VALU_DEP_3)
	v_add_co_ci_u32_e32 v11, vcc_lo, v9, v11, vcc_lo
	v_xor_b32_e32 v20, v6, v19
	v_mul_hi_u32 v21, v18, v3
	s_delay_alu instid0(VALU_DEP_3) | instskip(NEXT) | instid1(VALU_DEP_3)
	v_mad_u64_u32 v[5:6], null, v18, v11, 0
	v_mad_u64_u32 v[9:10], null, v20, v3, 0
	;; [unrolled: 1-line block ×3, first 2 shown]
	s_delay_alu instid0(VALU_DEP_3) | instskip(NEXT) | instid1(VALU_DEP_4)
	v_add_co_u32 v3, vcc_lo, v21, v5
	v_add_co_ci_u32_e32 v5, vcc_lo, 0, v6, vcc_lo
	s_delay_alu instid0(VALU_DEP_2) | instskip(NEXT) | instid1(VALU_DEP_2)
	v_add_co_u32 v3, vcc_lo, v3, v9
	v_add_co_ci_u32_e32 v3, vcc_lo, v5, v10, vcc_lo
	v_add_co_ci_u32_e32 v5, vcc_lo, 0, v17, vcc_lo
	s_delay_alu instid0(VALU_DEP_2) | instskip(NEXT) | instid1(VALU_DEP_2)
	v_add_co_u32 v3, vcc_lo, v3, v16
	v_add_co_ci_u32_e32 v9, vcc_lo, 0, v5, vcc_lo
	s_delay_alu instid0(VALU_DEP_2) | instskip(SKIP_1) | instid1(VALU_DEP_3)
	v_mul_lo_u32 v10, s7, v3
	v_mad_u64_u32 v[5:6], null, s6, v3, 0
	v_mul_lo_u32 v9, s6, v9
	s_delay_alu instid0(VALU_DEP_2) | instskip(NEXT) | instid1(VALU_DEP_2)
	v_sub_co_u32 v5, vcc_lo, v18, v5
	v_add3_u32 v6, v6, v9, v10
	v_add_co_u32 v10, s2, v3, 2
	s_delay_alu instid0(VALU_DEP_2) | instskip(NEXT) | instid1(VALU_DEP_1)
	v_sub_nc_u32_e32 v9, v20, v6
	v_subrev_co_ci_u32_e64 v9, s2, s7, v9, vcc_lo
	v_sub_co_u32 v11, s2, v5, s6
	v_sub_co_ci_u32_e32 v6, vcc_lo, v20, v6, vcc_lo
	s_delay_alu instid0(VALU_DEP_3) | instskip(NEXT) | instid1(VALU_DEP_3)
	v_subrev_co_ci_u32_e64 v9, s2, 0, v9, s2
	v_cmp_le_u32_e32 vcc_lo, s6, v11
	v_cndmask_b32_e64 v11, 0, -1, vcc_lo
	s_delay_alu instid0(VALU_DEP_3)
	v_cmp_le_u32_e32 vcc_lo, s7, v9
	v_cndmask_b32_e64 v16, 0, -1, vcc_lo
	v_cmp_le_u32_e32 vcc_lo, s6, v5
	v_cndmask_b32_e64 v5, 0, -1, vcc_lo
	;; [unrolled: 2-line block ×3, first 2 shown]
	v_cmp_eq_u32_e32 vcc_lo, s7, v9
	v_cndmask_b32_e32 v9, v16, v11, vcc_lo
	v_add_co_u32 v11, vcc_lo, v3, 1
	v_cmp_eq_u32_e32 vcc_lo, s7, v6
	v_cndmask_b32_e32 v5, v17, v5, vcc_lo
	s_delay_alu instid0(VALU_DEP_4) | instskip(NEXT) | instid1(VALU_DEP_4)
	v_cmp_ne_u32_e32 vcc_lo, 0, v9
	v_cndmask_b32_e32 v6, v11, v10, vcc_lo
	s_delay_alu instid0(VALU_DEP_3) | instskip(SKIP_1) | instid1(VALU_DEP_3)
	v_cmp_ne_u32_e32 vcc_lo, 0, v5
	v_xor_b32_e32 v5, s4, v19
	v_cndmask_b32_e32 v3, v3, v6, vcc_lo
	s_delay_alu instid0(VALU_DEP_1) | instskip(NEXT) | instid1(VALU_DEP_1)
	v_xor_b32_e32 v3, v3, v5
	v_sub_co_u32 v9, vcc_lo, v3, v5
                                        ; implicit-def: $vgpr5_vgpr6
	s_and_not1_saveexec_b32 s2, s3
	s_cbranch_execz .LBB3_25
.LBB3_27:                               ;   in Loop: Header=BB3_15 Depth=1
	v_mul_hi_u32 v3, v5, v15
	s_delay_alu instid0(VALU_DEP_1) | instskip(NEXT) | instid1(VALU_DEP_1)
	v_mul_lo_u32 v6, v3, s8
	v_sub_nc_u32_e32 v5, v5, v6
	s_delay_alu instid0(VALU_DEP_1) | instskip(SKIP_1) | instid1(VALU_DEP_2)
	v_subrev_nc_u32_e32 v9, s8, v5
	v_cmp_le_u32_e32 vcc_lo, s8, v5
	v_dual_cndmask_b32 v5, v5, v9 :: v_dual_add_nc_u32 v6, 1, v3
	s_delay_alu instid0(VALU_DEP_1) | instskip(NEXT) | instid1(VALU_DEP_2)
	v_cndmask_b32_e32 v3, v3, v6, vcc_lo
	v_cmp_le_u32_e32 vcc_lo, s8, v5
	s_delay_alu instid0(VALU_DEP_2) | instskip(NEXT) | instid1(VALU_DEP_1)
	v_add_nc_u32_e32 v6, 1, v3
	v_cndmask_b32_e32 v9, v3, v6, vcc_lo
	s_or_b32 exec_lo, exec_lo, s2
	s_and_saveexec_b32 s34, s0
	s_cbranch_execz .LBB3_14
.LBB3_28:                               ;   in Loop: Header=BB3_15 Depth=1
	s_delay_alu instid0(VALU_DEP_1) | instskip(SKIP_2) | instid1(VALU_DEP_2)
	v_mad_u64_u32 v[5:6], null, v7, s17, v[8:9]
	v_mul_lo_u32 v6, v2, s21
	s_mov_b32 s35, 0
	v_sub_nc_u32_e32 v3, v9, v5
	s_delay_alu instid0(VALU_DEP_2) | instskip(NEXT) | instid1(VALU_DEP_2)
	v_ashrrev_i32_e32 v7, 31, v6
	v_dual_mov_b32 v3, v0 :: v_dual_add_nc_u32 v16, 1, v3
	s_delay_alu instid0(VALU_DEP_2) | instskip(NEXT) | instid1(VALU_DEP_2)
	v_lshlrev_b64 v[6:7], 1, v[6:7]
	v_mul_lo_u32 v17, v16, v12
	v_cmp_lt_i32_e64 s2, 0, v16
	s_delay_alu instid0(VALU_DEP_3) | instskip(NEXT) | instid1(VALU_DEP_4)
	v_add_co_u32 v18, vcc_lo, s22, v6
	v_add_co_ci_u32_e32 v19, vcc_lo, s23, v7, vcc_lo
	s_branch .LBB3_30
.LBB3_29:                               ;   in Loop: Header=BB3_30 Depth=2
	s_delay_alu instid0(VALU_DEP_1) | instskip(NEXT) | instid1(VALU_DEP_1)
	v_mul_lo_u32 v7, v17, v7
	v_cvt_f32_i32_e32 v7, v7
	s_delay_alu instid0(VALU_DEP_1) | instskip(SKIP_1) | instid1(VALU_DEP_2)
	v_div_scale_f32 v8, null, v7, v7, v6
	v_div_scale_f32 v11, vcc_lo, v6, v7, v6
	v_rcp_f32_e32 v9, v8
	s_waitcnt_depctr 0xfff
	v_fma_f32 v10, -v8, v9, 1.0
	s_delay_alu instid0(VALU_DEP_1) | instskip(NEXT) | instid1(VALU_DEP_1)
	v_fmac_f32_e32 v9, v10, v9
	v_mul_f32_e32 v10, v11, v9
	s_delay_alu instid0(VALU_DEP_1) | instskip(NEXT) | instid1(VALU_DEP_1)
	v_fma_f32 v20, -v8, v10, v11
	v_fmac_f32_e32 v10, v20, v9
	s_delay_alu instid0(VALU_DEP_1) | instskip(NEXT) | instid1(VALU_DEP_1)
	v_fma_f32 v8, -v8, v10, v11
	v_div_fmas_f32 v8, v8, v9, v10
	s_delay_alu instid0(VALU_DEP_1) | instskip(NEXT) | instid1(VALU_DEP_1)
	v_div_fixup_f32 v8, v8, v7, v6
	v_bfe_u32 v6, v8, 16, 1
	v_cmp_o_f32_e64 s3, v8, v8
	s_delay_alu instid0(VALU_DEP_2) | instskip(SKIP_2) | instid1(VALU_DEP_3)
	v_add3_u32 v9, v8, v6, 0x7fff
	v_lshlrev_b64 v[6:7], 1, v[3:4]
	v_add_nc_u32_e32 v3, s24, v3
	v_lshrrev_b32_e32 v9, 16, v9
	s_delay_alu instid0(VALU_DEP_3) | instskip(NEXT) | instid1(VALU_DEP_4)
	v_add_co_u32 v6, vcc_lo, v18, v6
	v_add_co_ci_u32_e32 v7, vcc_lo, v19, v7, vcc_lo
	s_delay_alu instid0(VALU_DEP_4) | instskip(NEXT) | instid1(VALU_DEP_4)
	v_cmp_le_i32_e32 vcc_lo, s21, v3
	v_cndmask_b32_e64 v8, 0x7fc0, v9, s3
	s_or_b32 s35, vcc_lo, s35
	global_store_b16 v[6:7], v8, off
	s_and_not1_b32 exec_lo, exec_lo, s35
	s_cbranch_execz .LBB3_14
.LBB3_30:                               ;   Parent Loop BB3_15 Depth=1
                                        ; =>  This Loop Header: Depth=2
                                        ;       Child Loop BB3_46 Depth 3
                                        ;         Child Loop BB3_49 Depth 4
                                        ;           Child Loop BB3_51 Depth 5
	v_or_b32_e64 v7, 0, s19
	v_mov_b32_e32 v6, v4
	s_delay_alu instid0(VALU_DEP_1) | instskip(SKIP_1) | instid1(SALU_CYCLE_1)
	v_cmp_ne_u64_e32 vcc_lo, 0, v[6:7]
                                        ; implicit-def: $vgpr6_vgpr7
	s_and_saveexec_b32 s3, vcc_lo
	s_xor_b32 s36, exec_lo, s3
	s_cbranch_execz .LBB3_32
; %bb.31:                               ;   in Loop: Header=BB3_30 Depth=2
	s_add_u32 s6, s30, s19
	s_mov_b32 s4, s19
	s_mov_b32 s5, s19
	s_addc_u32 s7, s19, s19
	s_delay_alu instid0(SALU_CYCLE_1) | instskip(NEXT) | instid1(SALU_CYCLE_1)
	s_xor_b64 s[6:7], s[6:7], s[4:5]
	v_cvt_f32_u32_e32 v6, s6
	v_cvt_f32_u32_e32 v7, s7
	s_sub_u32 s3, 0, s6
	s_subb_u32 s37, 0, s7
	s_delay_alu instid0(VALU_DEP_1) | instskip(NEXT) | instid1(VALU_DEP_1)
	v_fmac_f32_e32 v6, 0x4f800000, v7
	v_rcp_f32_e32 v6, v6
	s_waitcnt_depctr 0xfff
	v_mul_f32_e32 v6, 0x5f7ffffc, v6
	s_delay_alu instid0(VALU_DEP_1) | instskip(NEXT) | instid1(VALU_DEP_1)
	v_mul_f32_e32 v7, 0x2f800000, v6
	v_trunc_f32_e32 v7, v7
	s_delay_alu instid0(VALU_DEP_1) | instskip(SKIP_1) | instid1(VALU_DEP_2)
	v_fmac_f32_e32 v6, 0xcf800000, v7
	v_cvt_u32_f32_e32 v7, v7
	v_cvt_u32_f32_e32 v6, v6
	s_delay_alu instid0(VALU_DEP_2) | instskip(NEXT) | instid1(VALU_DEP_2)
	v_mul_lo_u32 v8, s3, v7
	v_mul_hi_u32 v9, s3, v6
	v_mul_lo_u32 v10, s37, v6
	s_delay_alu instid0(VALU_DEP_2) | instskip(SKIP_1) | instid1(VALU_DEP_2)
	v_add_nc_u32_e32 v8, v9, v8
	v_mul_lo_u32 v9, s3, v6
	v_add_nc_u32_e32 v8, v8, v10
	s_delay_alu instid0(VALU_DEP_2) | instskip(NEXT) | instid1(VALU_DEP_2)
	v_mul_hi_u32 v10, v6, v9
	v_mul_lo_u32 v11, v6, v8
	v_mul_hi_u32 v20, v6, v8
	v_mul_hi_u32 v21, v7, v9
	v_mul_lo_u32 v9, v7, v9
	v_mul_hi_u32 v22, v7, v8
	v_mul_lo_u32 v8, v7, v8
	v_add_co_u32 v10, vcc_lo, v10, v11
	v_add_co_ci_u32_e32 v11, vcc_lo, 0, v20, vcc_lo
	s_delay_alu instid0(VALU_DEP_2) | instskip(NEXT) | instid1(VALU_DEP_2)
	v_add_co_u32 v9, vcc_lo, v10, v9
	v_add_co_ci_u32_e32 v9, vcc_lo, v11, v21, vcc_lo
	v_add_co_ci_u32_e32 v10, vcc_lo, 0, v22, vcc_lo
	v_ashrrev_i32_e64 v21, 31, 0
	s_delay_alu instid0(VALU_DEP_3) | instskip(NEXT) | instid1(VALU_DEP_3)
	v_add_co_u32 v8, vcc_lo, v9, v8
	v_add_co_ci_u32_e32 v9, vcc_lo, 0, v10, vcc_lo
	s_delay_alu instid0(VALU_DEP_2) | instskip(NEXT) | instid1(VALU_DEP_2)
	v_add_co_u32 v6, vcc_lo, v6, v8
	v_add_co_ci_u32_e32 v7, vcc_lo, v7, v9, vcc_lo
	s_delay_alu instid0(VALU_DEP_2) | instskip(SKIP_1) | instid1(VALU_DEP_3)
	v_mul_hi_u32 v8, s3, v6
	v_mul_lo_u32 v10, s37, v6
	v_mul_lo_u32 v9, s3, v7
	s_delay_alu instid0(VALU_DEP_1) | instskip(SKIP_1) | instid1(VALU_DEP_2)
	v_add_nc_u32_e32 v8, v8, v9
	v_mul_lo_u32 v9, s3, v6
	v_add_nc_u32_e32 v8, v8, v10
	s_delay_alu instid0(VALU_DEP_2) | instskip(NEXT) | instid1(VALU_DEP_2)
	v_mul_hi_u32 v10, v6, v9
	v_mul_lo_u32 v11, v6, v8
	v_mul_hi_u32 v20, v6, v8
	v_mul_hi_u32 v22, v7, v9
	v_mul_lo_u32 v9, v7, v9
	v_mul_hi_u32 v23, v7, v8
	v_mul_lo_u32 v8, v7, v8
	v_add_co_u32 v10, vcc_lo, v10, v11
	v_add_co_ci_u32_e32 v11, vcc_lo, 0, v20, vcc_lo
	s_delay_alu instid0(VALU_DEP_2) | instskip(NEXT) | instid1(VALU_DEP_2)
	v_add_co_u32 v9, vcc_lo, v10, v9
	v_add_co_ci_u32_e32 v9, vcc_lo, v11, v22, vcc_lo
	v_add_co_ci_u32_e32 v10, vcc_lo, 0, v23, vcc_lo
	v_add_co_u32 v11, vcc_lo, v3, v21
	v_add_co_ci_u32_e32 v20, vcc_lo, 0, v21, vcc_lo
	s_delay_alu instid0(VALU_DEP_4) | instskip(NEXT) | instid1(VALU_DEP_4)
	v_add_co_u32 v8, vcc_lo, v9, v8
	v_add_co_ci_u32_e32 v9, vcc_lo, 0, v10, vcc_lo
	s_delay_alu instid0(VALU_DEP_4) | instskip(NEXT) | instid1(VALU_DEP_3)
	v_xor_b32_e32 v22, v11, v21
	v_add_co_u32 v10, vcc_lo, v6, v8
	s_delay_alu instid0(VALU_DEP_3) | instskip(SKIP_1) | instid1(VALU_DEP_3)
	v_add_co_ci_u32_e32 v23, vcc_lo, v7, v9, vcc_lo
	v_xor_b32_e32 v20, v20, v21
	v_mul_hi_u32 v24, v22, v10
	s_delay_alu instid0(VALU_DEP_3) | instskip(NEXT) | instid1(VALU_DEP_3)
	v_mad_u64_u32 v[6:7], null, v22, v23, 0
	v_mad_u64_u32 v[8:9], null, v20, v10, 0
	;; [unrolled: 1-line block ×3, first 2 shown]
	s_delay_alu instid0(VALU_DEP_3) | instskip(NEXT) | instid1(VALU_DEP_4)
	v_add_co_u32 v6, vcc_lo, v24, v6
	v_add_co_ci_u32_e32 v7, vcc_lo, 0, v7, vcc_lo
	s_delay_alu instid0(VALU_DEP_2) | instskip(NEXT) | instid1(VALU_DEP_2)
	v_add_co_u32 v6, vcc_lo, v6, v8
	v_add_co_ci_u32_e32 v6, vcc_lo, v7, v9, vcc_lo
	v_add_co_ci_u32_e32 v7, vcc_lo, 0, v11, vcc_lo
	s_delay_alu instid0(VALU_DEP_2) | instskip(NEXT) | instid1(VALU_DEP_2)
	v_add_co_u32 v8, vcc_lo, v6, v10
	v_add_co_ci_u32_e32 v9, vcc_lo, 0, v7, vcc_lo
	s_delay_alu instid0(VALU_DEP_2) | instskip(SKIP_1) | instid1(VALU_DEP_3)
	v_mul_lo_u32 v10, s7, v8
	v_mad_u64_u32 v[6:7], null, s6, v8, 0
	v_mul_lo_u32 v11, s6, v9
	s_delay_alu instid0(VALU_DEP_2) | instskip(NEXT) | instid1(VALU_DEP_2)
	v_sub_co_u32 v6, vcc_lo, v22, v6
	v_add3_u32 v7, v7, v11, v10
	s_delay_alu instid0(VALU_DEP_1) | instskip(NEXT) | instid1(VALU_DEP_1)
	v_sub_nc_u32_e32 v10, v20, v7
	v_subrev_co_ci_u32_e64 v10, s3, s7, v10, vcc_lo
	v_add_co_u32 v11, s3, v8, 2
	s_delay_alu instid0(VALU_DEP_1) | instskip(SKIP_3) | instid1(VALU_DEP_3)
	v_add_co_ci_u32_e64 v22, s3, 0, v9, s3
	v_sub_co_u32 v23, s3, v6, s6
	v_sub_co_ci_u32_e32 v7, vcc_lo, v20, v7, vcc_lo
	v_subrev_co_ci_u32_e64 v10, s3, 0, v10, s3
	v_cmp_le_u32_e32 vcc_lo, s6, v23
	s_delay_alu instid0(VALU_DEP_3) | instskip(SKIP_1) | instid1(VALU_DEP_4)
	v_cmp_eq_u32_e64 s3, s7, v7
	v_cndmask_b32_e64 v20, 0, -1, vcc_lo
	v_cmp_le_u32_e32 vcc_lo, s7, v10
	v_cndmask_b32_e64 v23, 0, -1, vcc_lo
	v_cmp_le_u32_e32 vcc_lo, s6, v6
	;; [unrolled: 2-line block ×3, first 2 shown]
	v_cndmask_b32_e64 v24, 0, -1, vcc_lo
	v_cmp_eq_u32_e32 vcc_lo, s7, v10
	s_delay_alu instid0(VALU_DEP_2) | instskip(SKIP_3) | instid1(VALU_DEP_3)
	v_cndmask_b32_e64 v6, v24, v6, s3
	v_cndmask_b32_e32 v10, v23, v20, vcc_lo
	v_add_co_u32 v20, vcc_lo, v8, 1
	v_add_co_ci_u32_e32 v23, vcc_lo, 0, v9, vcc_lo
	v_cmp_ne_u32_e32 vcc_lo, 0, v10
	s_delay_alu instid0(VALU_DEP_2) | instskip(SKIP_2) | instid1(VALU_DEP_3)
	v_dual_cndmask_b32 v7, v23, v22 :: v_dual_cndmask_b32 v10, v20, v11
	v_cmp_ne_u32_e32 vcc_lo, 0, v6
	v_xor_b32_e32 v6, s4, v21
	v_dual_cndmask_b32 v8, v8, v10 :: v_dual_cndmask_b32 v7, v9, v7
	v_xor_b32_e32 v9, s5, v21
	s_delay_alu instid0(VALU_DEP_2) | instskip(NEXT) | instid1(VALU_DEP_2)
	v_xor_b32_e32 v8, v8, v6
	v_xor_b32_e32 v7, v7, v9
	s_delay_alu instid0(VALU_DEP_2) | instskip(NEXT) | instid1(VALU_DEP_2)
	v_sub_co_u32 v6, vcc_lo, v8, v6
	v_sub_co_ci_u32_e32 v7, vcc_lo, v7, v9, vcc_lo
.LBB3_32:                               ;   in Loop: Header=BB3_30 Depth=2
	s_or_saveexec_b32 s3, s36
	v_cvt_f32_u32_e32 v20, s30
	s_xor_b32 exec_lo, exec_lo, s3
	s_cbranch_execz .LBB3_34
; %bb.33:                               ;   in Loop: Header=BB3_30 Depth=2
	s_delay_alu instid0(VALU_DEP_1) | instskip(SKIP_3) | instid1(VALU_DEP_1)
	v_rcp_iflag_f32_e32 v6, v20
	s_sub_i32 s4, 0, s30
	s_waitcnt_depctr 0xfff
	v_mul_f32_e32 v6, 0x4f7ffffe, v6
	v_cvt_u32_f32_e32 v6, v6
	s_delay_alu instid0(VALU_DEP_1) | instskip(NEXT) | instid1(VALU_DEP_1)
	v_mul_lo_u32 v7, s4, v6
	v_mul_hi_u32 v7, v6, v7
	s_delay_alu instid0(VALU_DEP_1) | instskip(NEXT) | instid1(VALU_DEP_1)
	v_add_nc_u32_e32 v6, v6, v7
	v_mul_hi_u32 v6, v3, v6
	s_delay_alu instid0(VALU_DEP_1) | instskip(SKIP_1) | instid1(VALU_DEP_2)
	v_mul_lo_u32 v7, v6, s30
	v_add_nc_u32_e32 v8, 1, v6
	v_sub_nc_u32_e32 v7, v3, v7
	s_delay_alu instid0(VALU_DEP_1) | instskip(SKIP_1) | instid1(VALU_DEP_2)
	v_subrev_nc_u32_e32 v9, s30, v7
	v_cmp_le_u32_e32 vcc_lo, s30, v7
	v_dual_cndmask_b32 v7, v7, v9 :: v_dual_cndmask_b32 v6, v6, v8
	s_delay_alu instid0(VALU_DEP_1) | instskip(NEXT) | instid1(VALU_DEP_2)
	v_cmp_le_u32_e32 vcc_lo, s30, v7
	v_dual_mov_b32 v7, v4 :: v_dual_add_nc_u32 v8, 1, v6
	s_delay_alu instid0(VALU_DEP_1)
	v_cndmask_b32_e32 v6, v6, v8, vcc_lo
.LBB3_34:                               ;   in Loop: Header=BB3_30 Depth=2
	s_or_b32 exec_lo, exec_lo, s3
	s_delay_alu instid0(VALU_DEP_2) | instskip(NEXT) | instid1(VALU_DEP_2)
	v_mul_lo_u32 v9, v7, s30
	v_mul_lo_u32 v10, v6, s19
	v_mad_u64_u32 v[7:8], null, v6, s30, 0
	s_delay_alu instid0(VALU_DEP_1) | instskip(NEXT) | instid1(VALU_DEP_2)
	v_add3_u32 v8, v8, v10, v9
	v_sub_co_u32 v7, vcc_lo, v3, v7
	s_delay_alu instid0(VALU_DEP_2) | instskip(NEXT) | instid1(VALU_DEP_2)
	v_sub_co_ci_u32_e32 v8, vcc_lo, 0, v8, vcc_lo
	v_mul_lo_u32 v11, v7, s26
	v_mad_u64_u32 v[9:10], null, v7, s18, 0
	s_delay_alu instid0(VALU_DEP_3) | instskip(NEXT) | instid1(VALU_DEP_1)
	v_mul_lo_u32 v7, v8, s18
	v_add3_u32 v10, v10, v11, v7
	v_mov_b32_e32 v7, v4
	s_delay_alu instid0(VALU_DEP_2) | instskip(NEXT) | instid1(VALU_DEP_1)
	v_or_b32_e32 v8, s19, v10
	v_cmp_ne_u64_e32 vcc_lo, 0, v[7:8]
                                        ; implicit-def: $vgpr7_vgpr8
	s_and_saveexec_b32 s3, vcc_lo
	s_delay_alu instid0(SALU_CYCLE_1)
	s_xor_b32 s36, exec_lo, s3
	s_cbranch_execz .LBB3_36
; %bb.35:                               ;   in Loop: Header=BB3_30 Depth=2
	s_add_u32 s6, s30, s19
	s_mov_b32 s4, s19
	s_mov_b32 s5, s19
	s_addc_u32 s7, s19, s19
	s_delay_alu instid0(SALU_CYCLE_1) | instskip(NEXT) | instid1(SALU_CYCLE_1)
	s_xor_b64 s[6:7], s[6:7], s[4:5]
	v_cvt_f32_u32_e32 v7, s6
	v_cvt_f32_u32_e32 v8, s7
	s_sub_u32 s3, 0, s6
	s_subb_u32 s5, 0, s7
	s_delay_alu instid0(VALU_DEP_1) | instskip(NEXT) | instid1(VALU_DEP_1)
	v_fmac_f32_e32 v7, 0x4f800000, v8
	v_rcp_f32_e32 v7, v7
	s_waitcnt_depctr 0xfff
	v_mul_f32_e32 v7, 0x5f7ffffc, v7
	s_delay_alu instid0(VALU_DEP_1) | instskip(NEXT) | instid1(VALU_DEP_1)
	v_mul_f32_e32 v8, 0x2f800000, v7
	v_trunc_f32_e32 v8, v8
	s_delay_alu instid0(VALU_DEP_1) | instskip(SKIP_1) | instid1(VALU_DEP_2)
	v_fmac_f32_e32 v7, 0xcf800000, v8
	v_cvt_u32_f32_e32 v8, v8
	v_cvt_u32_f32_e32 v7, v7
	s_delay_alu instid0(VALU_DEP_2) | instskip(NEXT) | instid1(VALU_DEP_2)
	v_mul_lo_u32 v11, s3, v8
	v_mul_hi_u32 v21, s3, v7
	v_mul_lo_u32 v22, s5, v7
	s_delay_alu instid0(VALU_DEP_2) | instskip(SKIP_1) | instid1(VALU_DEP_2)
	v_add_nc_u32_e32 v11, v21, v11
	v_mul_lo_u32 v21, s3, v7
	v_add_nc_u32_e32 v11, v11, v22
	s_delay_alu instid0(VALU_DEP_2) | instskip(NEXT) | instid1(VALU_DEP_2)
	v_mul_hi_u32 v22, v7, v21
	v_mul_lo_u32 v23, v7, v11
	v_mul_hi_u32 v24, v7, v11
	v_mul_hi_u32 v25, v8, v21
	v_mul_lo_u32 v21, v8, v21
	v_mul_hi_u32 v26, v8, v11
	v_mul_lo_u32 v11, v8, v11
	v_add_co_u32 v22, vcc_lo, v22, v23
	v_add_co_ci_u32_e32 v23, vcc_lo, 0, v24, vcc_lo
	s_delay_alu instid0(VALU_DEP_2) | instskip(NEXT) | instid1(VALU_DEP_2)
	v_add_co_u32 v21, vcc_lo, v22, v21
	v_add_co_ci_u32_e32 v21, vcc_lo, v23, v25, vcc_lo
	v_add_co_ci_u32_e32 v22, vcc_lo, 0, v26, vcc_lo
	v_ashrrev_i32_e32 v25, 31, v10
	s_delay_alu instid0(VALU_DEP_3) | instskip(NEXT) | instid1(VALU_DEP_3)
	v_add_co_u32 v11, vcc_lo, v21, v11
	v_add_co_ci_u32_e32 v21, vcc_lo, 0, v22, vcc_lo
	s_delay_alu instid0(VALU_DEP_2) | instskip(NEXT) | instid1(VALU_DEP_2)
	v_add_co_u32 v7, vcc_lo, v7, v11
	v_add_co_ci_u32_e32 v8, vcc_lo, v8, v21, vcc_lo
	s_delay_alu instid0(VALU_DEP_2) | instskip(SKIP_1) | instid1(VALU_DEP_3)
	v_mul_hi_u32 v11, s3, v7
	v_mul_lo_u32 v22, s5, v7
	v_mul_lo_u32 v21, s3, v8
	s_delay_alu instid0(VALU_DEP_1) | instskip(SKIP_1) | instid1(VALU_DEP_2)
	v_add_nc_u32_e32 v11, v11, v21
	v_mul_lo_u32 v21, s3, v7
	v_add_nc_u32_e32 v11, v11, v22
	s_delay_alu instid0(VALU_DEP_2) | instskip(NEXT) | instid1(VALU_DEP_2)
	v_mul_hi_u32 v22, v7, v21
	v_mul_lo_u32 v23, v7, v11
	v_mul_hi_u32 v24, v7, v11
	v_mul_hi_u32 v26, v8, v21
	v_mul_lo_u32 v21, v8, v21
	v_mul_hi_u32 v27, v8, v11
	v_mul_lo_u32 v11, v8, v11
	v_add_co_u32 v22, vcc_lo, v22, v23
	v_add_co_ci_u32_e32 v23, vcc_lo, 0, v24, vcc_lo
	s_delay_alu instid0(VALU_DEP_2) | instskip(NEXT) | instid1(VALU_DEP_2)
	v_add_co_u32 v21, vcc_lo, v22, v21
	v_add_co_ci_u32_e32 v21, vcc_lo, v23, v26, vcc_lo
	v_add_co_ci_u32_e32 v22, vcc_lo, 0, v27, vcc_lo
	v_add_co_u32 v9, vcc_lo, v9, v25
	v_add_co_ci_u32_e32 v10, vcc_lo, v10, v25, vcc_lo
	s_delay_alu instid0(VALU_DEP_4) | instskip(NEXT) | instid1(VALU_DEP_4)
	v_add_co_u32 v11, vcc_lo, v21, v11
	v_add_co_ci_u32_e32 v21, vcc_lo, 0, v22, vcc_lo
	s_delay_alu instid0(VALU_DEP_4) | instskip(NEXT) | instid1(VALU_DEP_3)
	v_xor_b32_e32 v23, v9, v25
	v_add_co_u32 v11, vcc_lo, v7, v11
	s_delay_alu instid0(VALU_DEP_3) | instskip(SKIP_1) | instid1(VALU_DEP_3)
	v_add_co_ci_u32_e32 v24, vcc_lo, v8, v21, vcc_lo
	v_xor_b32_e32 v26, v10, v25
	v_mul_hi_u32 v27, v23, v11
	s_delay_alu instid0(VALU_DEP_3) | instskip(NEXT) | instid1(VALU_DEP_3)
	v_mad_u64_u32 v[7:8], null, v23, v24, 0
	v_mad_u64_u32 v[9:10], null, v26, v11, 0
	;; [unrolled: 1-line block ×3, first 2 shown]
	s_delay_alu instid0(VALU_DEP_3) | instskip(NEXT) | instid1(VALU_DEP_4)
	v_add_co_u32 v7, vcc_lo, v27, v7
	v_add_co_ci_u32_e32 v8, vcc_lo, 0, v8, vcc_lo
	s_delay_alu instid0(VALU_DEP_2) | instskip(NEXT) | instid1(VALU_DEP_2)
	v_add_co_u32 v7, vcc_lo, v7, v9
	v_add_co_ci_u32_e32 v7, vcc_lo, v8, v10, vcc_lo
	v_add_co_ci_u32_e32 v8, vcc_lo, 0, v22, vcc_lo
	s_delay_alu instid0(VALU_DEP_2) | instskip(NEXT) | instid1(VALU_DEP_2)
	v_add_co_u32 v9, vcc_lo, v7, v21
	v_add_co_ci_u32_e32 v10, vcc_lo, 0, v8, vcc_lo
	s_delay_alu instid0(VALU_DEP_2) | instskip(SKIP_1) | instid1(VALU_DEP_3)
	v_mul_lo_u32 v11, s7, v9
	v_mad_u64_u32 v[7:8], null, s6, v9, 0
	v_mul_lo_u32 v10, s6, v10
	s_delay_alu instid0(VALU_DEP_2) | instskip(NEXT) | instid1(VALU_DEP_2)
	v_sub_co_u32 v7, vcc_lo, v23, v7
	v_add3_u32 v8, v8, v10, v11
	v_add_co_u32 v11, s3, v9, 2
	s_delay_alu instid0(VALU_DEP_2) | instskip(NEXT) | instid1(VALU_DEP_1)
	v_sub_nc_u32_e32 v10, v26, v8
	v_subrev_co_ci_u32_e64 v10, s3, s7, v10, vcc_lo
	v_sub_co_u32 v21, s3, v7, s6
	v_sub_co_ci_u32_e32 v8, vcc_lo, v26, v8, vcc_lo
	s_delay_alu instid0(VALU_DEP_3) | instskip(NEXT) | instid1(VALU_DEP_3)
	v_subrev_co_ci_u32_e64 v10, s3, 0, v10, s3
	v_cmp_le_u32_e32 vcc_lo, s6, v21
	v_cndmask_b32_e64 v21, 0, -1, vcc_lo
	s_delay_alu instid0(VALU_DEP_3)
	v_cmp_le_u32_e32 vcc_lo, s7, v10
	v_cndmask_b32_e64 v22, 0, -1, vcc_lo
	v_cmp_le_u32_e32 vcc_lo, s6, v7
	v_cndmask_b32_e64 v7, 0, -1, vcc_lo
	;; [unrolled: 2-line block ×3, first 2 shown]
	v_cmp_eq_u32_e32 vcc_lo, s7, v10
	v_cndmask_b32_e32 v10, v22, v21, vcc_lo
	v_add_co_u32 v21, vcc_lo, v9, 1
	v_cmp_eq_u32_e32 vcc_lo, s7, v8
	v_cndmask_b32_e32 v7, v23, v7, vcc_lo
	s_delay_alu instid0(VALU_DEP_4) | instskip(NEXT) | instid1(VALU_DEP_4)
	v_cmp_ne_u32_e32 vcc_lo, 0, v10
	v_cndmask_b32_e32 v8, v21, v11, vcc_lo
	s_delay_alu instid0(VALU_DEP_3) | instskip(NEXT) | instid1(VALU_DEP_2)
	v_cmp_ne_u32_e32 vcc_lo, 0, v7
	v_cndmask_b32_e32 v7, v9, v8, vcc_lo
	v_xor_b32_e32 v8, s4, v25
                                        ; implicit-def: $vgpr9_vgpr10
	s_delay_alu instid0(VALU_DEP_1) | instskip(NEXT) | instid1(VALU_DEP_1)
	v_xor_b32_e32 v7, v7, v8
	v_sub_co_u32 v7, vcc_lo, v7, v8
.LBB3_36:                               ;   in Loop: Header=BB3_30 Depth=2
	s_and_not1_saveexec_b32 s3, s36
	s_cbranch_execz .LBB3_38
; %bb.37:                               ;   in Loop: Header=BB3_30 Depth=2
	v_rcp_iflag_f32_e32 v7, v20
	s_sub_i32 s4, 0, s30
	s_waitcnt_depctr 0xfff
	v_mul_f32_e32 v7, 0x4f7ffffe, v7
	s_delay_alu instid0(VALU_DEP_1) | instskip(NEXT) | instid1(VALU_DEP_1)
	v_cvt_u32_f32_e32 v7, v7
	v_mul_lo_u32 v8, s4, v7
	s_delay_alu instid0(VALU_DEP_1) | instskip(NEXT) | instid1(VALU_DEP_1)
	v_mul_hi_u32 v8, v7, v8
	v_add_nc_u32_e32 v7, v7, v8
	s_delay_alu instid0(VALU_DEP_1) | instskip(NEXT) | instid1(VALU_DEP_1)
	v_mul_hi_u32 v7, v9, v7
	v_mul_lo_u32 v8, v7, s30
	s_delay_alu instid0(VALU_DEP_1) | instskip(SKIP_1) | instid1(VALU_DEP_2)
	v_sub_nc_u32_e32 v8, v9, v8
	v_add_nc_u32_e32 v9, 1, v7
	v_subrev_nc_u32_e32 v10, s30, v8
	v_cmp_le_u32_e32 vcc_lo, s30, v8
	s_delay_alu instid0(VALU_DEP_2) | instskip(NEXT) | instid1(VALU_DEP_1)
	v_dual_cndmask_b32 v8, v8, v10 :: v_dual_cndmask_b32 v7, v7, v9
	v_cmp_le_u32_e32 vcc_lo, s30, v8
	s_delay_alu instid0(VALU_DEP_2) | instskip(NEXT) | instid1(VALU_DEP_1)
	v_add_nc_u32_e32 v9, 1, v7
	v_cndmask_b32_e32 v7, v7, v9, vcc_lo
.LBB3_38:                               ;   in Loop: Header=BB3_30 Depth=2
	s_or_b32 exec_lo, exec_lo, s3
	v_add_co_u32 v10, s3, v3, 1
	s_delay_alu instid0(VALU_DEP_1) | instskip(NEXT) | instid1(VALU_DEP_2)
	v_add_co_ci_u32_e64 v8, null, 0, 0, s3
	v_mul_lo_u32 v11, v10, s26
	s_delay_alu instid0(VALU_DEP_2) | instskip(SKIP_2) | instid1(VALU_DEP_2)
	v_mul_lo_u32 v21, v8, s18
	v_mad_u64_u32 v[8:9], null, v10, s18, -1
	v_mov_b32_e32 v10, v4
	v_add3_u32 v9, v21, v9, v11
	s_delay_alu instid0(VALU_DEP_1) | instskip(NEXT) | instid1(VALU_DEP_1)
	v_or_b32_e32 v11, s19, v9
	v_cmp_ne_u64_e32 vcc_lo, 0, v[10:11]
                                        ; implicit-def: $vgpr10_vgpr11
	s_and_saveexec_b32 s3, vcc_lo
	s_delay_alu instid0(SALU_CYCLE_1)
	s_xor_b32 s36, exec_lo, s3
	s_cbranch_execz .LBB3_40
; %bb.39:                               ;   in Loop: Header=BB3_30 Depth=2
	s_add_u32 s6, s30, s19
	s_mov_b32 s4, s19
	s_mov_b32 s5, s19
	s_addc_u32 s7, s19, s19
	s_delay_alu instid0(SALU_CYCLE_1) | instskip(NEXT) | instid1(SALU_CYCLE_1)
	s_xor_b64 s[6:7], s[6:7], s[4:5]
	v_cvt_f32_u32_e32 v10, s6
	v_cvt_f32_u32_e32 v11, s7
	s_sub_u32 s3, 0, s6
	s_subb_u32 s5, 0, s7
	s_delay_alu instid0(VALU_DEP_1) | instskip(NEXT) | instid1(VALU_DEP_1)
	v_fmac_f32_e32 v10, 0x4f800000, v11
	v_rcp_f32_e32 v10, v10
	s_waitcnt_depctr 0xfff
	v_mul_f32_e32 v10, 0x5f7ffffc, v10
	s_delay_alu instid0(VALU_DEP_1) | instskip(NEXT) | instid1(VALU_DEP_1)
	v_mul_f32_e32 v11, 0x2f800000, v10
	v_trunc_f32_e32 v11, v11
	s_delay_alu instid0(VALU_DEP_1) | instskip(SKIP_1) | instid1(VALU_DEP_2)
	v_fmac_f32_e32 v10, 0xcf800000, v11
	v_cvt_u32_f32_e32 v11, v11
	v_cvt_u32_f32_e32 v10, v10
	s_delay_alu instid0(VALU_DEP_2) | instskip(NEXT) | instid1(VALU_DEP_2)
	v_mul_lo_u32 v20, s3, v11
	v_mul_hi_u32 v21, s3, v10
	v_mul_lo_u32 v22, s5, v10
	s_delay_alu instid0(VALU_DEP_2) | instskip(SKIP_1) | instid1(VALU_DEP_2)
	v_add_nc_u32_e32 v20, v21, v20
	v_mul_lo_u32 v21, s3, v10
	v_add_nc_u32_e32 v20, v20, v22
	s_delay_alu instid0(VALU_DEP_2) | instskip(NEXT) | instid1(VALU_DEP_2)
	v_mul_hi_u32 v22, v10, v21
	v_mul_lo_u32 v23, v10, v20
	v_mul_hi_u32 v24, v10, v20
	v_mul_hi_u32 v25, v11, v21
	v_mul_lo_u32 v21, v11, v21
	v_mul_hi_u32 v26, v11, v20
	v_mul_lo_u32 v20, v11, v20
	v_add_co_u32 v22, vcc_lo, v22, v23
	v_add_co_ci_u32_e32 v23, vcc_lo, 0, v24, vcc_lo
	s_delay_alu instid0(VALU_DEP_2) | instskip(NEXT) | instid1(VALU_DEP_2)
	v_add_co_u32 v21, vcc_lo, v22, v21
	v_add_co_ci_u32_e32 v21, vcc_lo, v23, v25, vcc_lo
	v_add_co_ci_u32_e32 v22, vcc_lo, 0, v26, vcc_lo
	v_ashrrev_i32_e32 v25, 31, v9
	s_delay_alu instid0(VALU_DEP_3) | instskip(NEXT) | instid1(VALU_DEP_3)
	v_add_co_u32 v20, vcc_lo, v21, v20
	v_add_co_ci_u32_e32 v21, vcc_lo, 0, v22, vcc_lo
	s_delay_alu instid0(VALU_DEP_2) | instskip(NEXT) | instid1(VALU_DEP_2)
	v_add_co_u32 v10, vcc_lo, v10, v20
	v_add_co_ci_u32_e32 v11, vcc_lo, v11, v21, vcc_lo
	s_delay_alu instid0(VALU_DEP_2) | instskip(SKIP_1) | instid1(VALU_DEP_3)
	v_mul_hi_u32 v20, s3, v10
	v_mul_lo_u32 v22, s5, v10
	v_mul_lo_u32 v21, s3, v11
	s_delay_alu instid0(VALU_DEP_1) | instskip(SKIP_1) | instid1(VALU_DEP_2)
	v_add_nc_u32_e32 v20, v20, v21
	v_mul_lo_u32 v21, s3, v10
	v_add_nc_u32_e32 v20, v20, v22
	s_delay_alu instid0(VALU_DEP_2) | instskip(NEXT) | instid1(VALU_DEP_2)
	v_mul_hi_u32 v22, v10, v21
	v_mul_lo_u32 v23, v10, v20
	v_mul_hi_u32 v24, v10, v20
	v_mul_hi_u32 v26, v11, v21
	v_mul_lo_u32 v21, v11, v21
	v_mul_hi_u32 v27, v11, v20
	v_mul_lo_u32 v20, v11, v20
	v_add_co_u32 v22, vcc_lo, v22, v23
	v_add_co_ci_u32_e32 v23, vcc_lo, 0, v24, vcc_lo
	s_delay_alu instid0(VALU_DEP_2) | instskip(NEXT) | instid1(VALU_DEP_2)
	v_add_co_u32 v21, vcc_lo, v22, v21
	v_add_co_ci_u32_e32 v21, vcc_lo, v23, v26, vcc_lo
	v_add_co_ci_u32_e32 v22, vcc_lo, 0, v27, vcc_lo
	v_add_co_u32 v8, vcc_lo, v8, v25
	v_add_co_ci_u32_e32 v9, vcc_lo, v9, v25, vcc_lo
	s_delay_alu instid0(VALU_DEP_4) | instskip(NEXT) | instid1(VALU_DEP_4)
	v_add_co_u32 v20, vcc_lo, v21, v20
	v_add_co_ci_u32_e32 v21, vcc_lo, 0, v22, vcc_lo
	s_delay_alu instid0(VALU_DEP_4) | instskip(NEXT) | instid1(VALU_DEP_3)
	v_xor_b32_e32 v22, v8, v25
	v_add_co_u32 v20, vcc_lo, v10, v20
	s_delay_alu instid0(VALU_DEP_3) | instskip(SKIP_1) | instid1(VALU_DEP_3)
	v_add_co_ci_u32_e32 v23, vcc_lo, v11, v21, vcc_lo
	v_xor_b32_e32 v24, v9, v25
	v_mul_hi_u32 v26, v22, v20
	s_delay_alu instid0(VALU_DEP_3) | instskip(NEXT) | instid1(VALU_DEP_3)
	v_mad_u64_u32 v[8:9], null, v22, v23, 0
	v_mad_u64_u32 v[10:11], null, v24, v20, 0
	;; [unrolled: 1-line block ×3, first 2 shown]
	s_delay_alu instid0(VALU_DEP_3) | instskip(NEXT) | instid1(VALU_DEP_4)
	v_add_co_u32 v8, vcc_lo, v26, v8
	v_add_co_ci_u32_e32 v9, vcc_lo, 0, v9, vcc_lo
	s_delay_alu instid0(VALU_DEP_2) | instskip(NEXT) | instid1(VALU_DEP_2)
	v_add_co_u32 v8, vcc_lo, v8, v10
	v_add_co_ci_u32_e32 v8, vcc_lo, v9, v11, vcc_lo
	v_add_co_ci_u32_e32 v9, vcc_lo, 0, v21, vcc_lo
	s_delay_alu instid0(VALU_DEP_2) | instskip(NEXT) | instid1(VALU_DEP_2)
	v_add_co_u32 v10, vcc_lo, v8, v20
	v_add_co_ci_u32_e32 v11, vcc_lo, 0, v9, vcc_lo
	s_delay_alu instid0(VALU_DEP_2) | instskip(SKIP_1) | instid1(VALU_DEP_3)
	v_mul_lo_u32 v20, s7, v10
	v_mad_u64_u32 v[8:9], null, s6, v10, 0
	v_mul_lo_u32 v11, s6, v11
	s_delay_alu instid0(VALU_DEP_2) | instskip(NEXT) | instid1(VALU_DEP_2)
	v_sub_co_u32 v8, vcc_lo, v22, v8
	v_add3_u32 v9, v9, v11, v20
	v_add_co_u32 v20, s3, v10, 2
	s_delay_alu instid0(VALU_DEP_2) | instskip(NEXT) | instid1(VALU_DEP_1)
	v_sub_nc_u32_e32 v11, v24, v9
	v_subrev_co_ci_u32_e64 v11, s3, s7, v11, vcc_lo
	v_sub_co_u32 v21, s3, v8, s6
	v_sub_co_ci_u32_e32 v9, vcc_lo, v24, v9, vcc_lo
	s_delay_alu instid0(VALU_DEP_3) | instskip(NEXT) | instid1(VALU_DEP_3)
	v_subrev_co_ci_u32_e64 v11, s3, 0, v11, s3
	v_cmp_le_u32_e32 vcc_lo, s6, v21
	v_cndmask_b32_e64 v21, 0, -1, vcc_lo
	s_delay_alu instid0(VALU_DEP_3)
	v_cmp_le_u32_e32 vcc_lo, s7, v11
	v_cndmask_b32_e64 v22, 0, -1, vcc_lo
	v_cmp_le_u32_e32 vcc_lo, s6, v8
	v_cndmask_b32_e64 v8, 0, -1, vcc_lo
	;; [unrolled: 2-line block ×3, first 2 shown]
	v_cmp_eq_u32_e32 vcc_lo, s7, v11
	v_cndmask_b32_e32 v11, v22, v21, vcc_lo
	v_add_co_u32 v21, vcc_lo, v10, 1
	v_cmp_eq_u32_e32 vcc_lo, s7, v9
	v_cndmask_b32_e32 v8, v23, v8, vcc_lo
	s_delay_alu instid0(VALU_DEP_4) | instskip(NEXT) | instid1(VALU_DEP_4)
	v_cmp_ne_u32_e32 vcc_lo, 0, v11
	v_cndmask_b32_e32 v9, v21, v20, vcc_lo
	s_delay_alu instid0(VALU_DEP_3) | instskip(NEXT) | instid1(VALU_DEP_2)
	v_cmp_ne_u32_e32 vcc_lo, 0, v8
                                        ; implicit-def: $vgpr20
	v_cndmask_b32_e32 v8, v10, v9, vcc_lo
	v_xor_b32_e32 v9, s4, v25
	s_delay_alu instid0(VALU_DEP_1) | instskip(NEXT) | instid1(VALU_DEP_1)
	v_xor_b32_e32 v8, v8, v9
	v_sub_co_u32 v10, vcc_lo, v8, v9
                                        ; implicit-def: $vgpr8_vgpr9
.LBB3_40:                               ;   in Loop: Header=BB3_30 Depth=2
	s_and_not1_saveexec_b32 s3, s36
	s_cbranch_execz .LBB3_42
; %bb.41:                               ;   in Loop: Header=BB3_30 Depth=2
	v_rcp_iflag_f32_e32 v9, v20
	s_sub_i32 s4, 0, s30
	s_waitcnt_depctr 0xfff
	v_mul_f32_e32 v9, 0x4f7ffffe, v9
	s_delay_alu instid0(VALU_DEP_1) | instskip(NEXT) | instid1(VALU_DEP_1)
	v_cvt_u32_f32_e32 v9, v9
	v_mul_lo_u32 v10, s4, v9
	s_delay_alu instid0(VALU_DEP_1) | instskip(NEXT) | instid1(VALU_DEP_1)
	v_mul_hi_u32 v10, v9, v10
	v_add_nc_u32_e32 v9, v9, v10
	s_delay_alu instid0(VALU_DEP_1) | instskip(NEXT) | instid1(VALU_DEP_1)
	v_mul_hi_u32 v9, v8, v9
	v_mul_lo_u32 v10, v9, s30
	s_delay_alu instid0(VALU_DEP_1) | instskip(SKIP_1) | instid1(VALU_DEP_2)
	v_sub_nc_u32_e32 v8, v8, v10
	v_add_nc_u32_e32 v10, 1, v9
	v_subrev_nc_u32_e32 v11, s30, v8
	v_cmp_le_u32_e32 vcc_lo, s30, v8
	s_delay_alu instid0(VALU_DEP_2) | instskip(NEXT) | instid1(VALU_DEP_1)
	v_dual_cndmask_b32 v8, v8, v11 :: v_dual_cndmask_b32 v9, v9, v10
	v_cmp_le_u32_e32 vcc_lo, s30, v8
	s_delay_alu instid0(VALU_DEP_2) | instskip(NEXT) | instid1(VALU_DEP_1)
	v_add_nc_u32_e32 v10, 1, v9
	v_cndmask_b32_e32 v10, v9, v10, vcc_lo
.LBB3_42:                               ;   in Loop: Header=BB3_30 Depth=2
	s_or_b32 exec_lo, exec_lo, s3
	v_mad_u64_u32 v[8:9], null, v6, s18, v[7:8]
	s_and_not1_b32 vcc_lo, exec_lo, s1
	s_delay_alu instid0(VALU_DEP_1) | instskip(NEXT) | instid1(VALU_DEP_1)
	v_sub_nc_u32_e32 v6, v10, v8
	v_dual_mov_b32 v6, 0 :: v_dual_add_nc_u32 v7, 1, v6
	s_cbranch_vccnz .LBB3_29
; %bb.43:                               ;   in Loop: Header=BB3_30 Depth=2
	s_delay_alu instid0(VALU_DEP_1)
	v_cmp_lt_i32_e64 s3, 0, v7
	v_mov_b32_e32 v6, 0
	s_mov_b32 s4, 0
	s_branch .LBB3_46
.LBB3_44:                               ;   in Loop: Header=BB3_46 Depth=3
	s_or_b32 exec_lo, exec_lo, s6
.LBB3_45:                               ;   in Loop: Header=BB3_46 Depth=3
	s_delay_alu instid0(SALU_CYCLE_1) | instskip(SKIP_1) | instid1(SALU_CYCLE_1)
	s_or_b32 exec_lo, exec_lo, s5
	s_add_i32 s4, s4, 1
	v_cmp_ne_u32_e32 vcc_lo, s4, v13
	s_cbranch_vccz .LBB3_29
.LBB3_46:                               ;   Parent Loop BB3_15 Depth=1
                                        ;     Parent Loop BB3_30 Depth=2
                                        ; =>    This Loop Header: Depth=3
                                        ;         Child Loop BB3_49 Depth 4
                                        ;           Child Loop BB3_51 Depth 5
	s_and_saveexec_b32 s5, s2
	s_cbranch_execz .LBB3_45
; %bb.47:                               ;   in Loop: Header=BB3_46 Depth=3
	v_add_nc_u32_e32 v9, s4, v1
	s_mov_b32 s6, 0
	s_mov_b32 s7, 0
	s_delay_alu instid0(VALU_DEP_1) | instskip(SKIP_3) | instid1(VALU_DEP_4)
	v_ashrrev_i32_e32 v10, 31, v9
	v_mul_lo_u32 v11, v9, s11
	v_mul_hi_u32 v20, v9, s10
	v_mul_lo_u32 v9, v9, s10
	v_mul_lo_u32 v10, v10, s10
	s_delay_alu instid0(VALU_DEP_3) | instskip(NEXT) | instid1(VALU_DEP_1)
	v_add_nc_u32_e32 v11, v20, v11
	v_add_nc_u32_e32 v10, v11, v10
	s_delay_alu instid0(VALU_DEP_1) | instskip(NEXT) | instid1(VALU_DEP_1)
	v_lshlrev_b64 v[9:10], 1, v[9:10]
	v_add_co_u32 v9, vcc_lo, s9, v9
	s_delay_alu instid0(VALU_DEP_2)
	v_add_co_ci_u32_e32 v10, vcc_lo, s27, v10, vcc_lo
	s_branch .LBB3_49
.LBB3_48:                               ;   in Loop: Header=BB3_49 Depth=4
	s_or_b32 exec_lo, exec_lo, s36
	s_add_i32 s7, s7, 1
	s_delay_alu instid0(SALU_CYCLE_1) | instskip(SKIP_1) | instid1(SALU_CYCLE_1)
	v_cmp_ge_i32_e32 vcc_lo, s7, v16
	s_or_b32 s6, vcc_lo, s6
	s_and_not1_b32 exec_lo, exec_lo, s6
	s_cbranch_execz .LBB3_44
.LBB3_49:                               ;   Parent Loop BB3_15 Depth=1
                                        ;     Parent Loop BB3_30 Depth=2
                                        ;       Parent Loop BB3_46 Depth=3
                                        ; =>      This Loop Header: Depth=4
                                        ;           Child Loop BB3_51 Depth 5
	s_and_saveexec_b32 s36, s3
	s_cbranch_execz .LBB3_48
; %bb.50:                               ;   in Loop: Header=BB3_49 Depth=4
	v_add_nc_u32_e32 v11, s7, v5
	s_mov_b32 s37, 0
	s_mov_b32 s38, 0
	s_delay_alu instid0(VALU_DEP_1) | instskip(SKIP_2) | instid1(VALU_DEP_3)
	v_ashrrev_i32_e32 v22, 31, v11
	v_mul_lo_u32 v23, v11, s13
	v_mad_u64_u32 v[20:21], null, v11, s12, 0
	v_mul_lo_u32 v11, v22, s12
	s_delay_alu instid0(VALU_DEP_1) | instskip(NEXT) | instid1(VALU_DEP_1)
	v_add3_u32 v21, v21, v23, v11
	v_lshlrev_b64 v[20:21], 1, v[20:21]
	s_delay_alu instid0(VALU_DEP_1) | instskip(NEXT) | instid1(VALU_DEP_2)
	v_add_co_u32 v11, vcc_lo, v9, v20
	v_add_co_ci_u32_e32 v20, vcc_lo, v10, v21, vcc_lo
	.p2align	6
.LBB3_51:                               ;   Parent Loop BB3_15 Depth=1
                                        ;     Parent Loop BB3_30 Depth=2
                                        ;       Parent Loop BB3_46 Depth=3
                                        ;         Parent Loop BB3_49 Depth=4
                                        ; =>        This Inner Loop Header: Depth=5
	v_add_nc_u32_e32 v23, s38, v8
	s_add_i32 s38, s38, 1
	s_delay_alu instid0(VALU_DEP_1) | instskip(SKIP_2) | instid1(VALU_DEP_3)
	v_ashrrev_i32_e32 v24, 31, v23
	v_mul_lo_u32 v25, v23, s15
	v_mad_u64_u32 v[21:22], null, v23, s14, 0
	v_mul_lo_u32 v23, v24, s14
	s_delay_alu instid0(VALU_DEP_1) | instskip(NEXT) | instid1(VALU_DEP_1)
	v_add3_u32 v22, v22, v25, v23
	v_lshlrev_b64 v[21:22], 1, v[21:22]
	s_delay_alu instid0(VALU_DEP_1) | instskip(NEXT) | instid1(VALU_DEP_2)
	v_add_co_u32 v21, vcc_lo, v11, v21
	v_add_co_ci_u32_e32 v22, vcc_lo, v20, v22, vcc_lo
	v_cmp_ge_i32_e32 vcc_lo, s38, v7
	global_load_u16 v21, v[21:22], off
	s_or_b32 s37, vcc_lo, s37
	s_waitcnt vmcnt(0)
	v_lshlrev_b32_e32 v21, 16, v21
	s_delay_alu instid0(VALU_DEP_1)
	v_add_f32_e32 v6, v6, v21
	s_and_not1_b32 exec_lo, exec_lo, s37
	s_cbranch_execnz .LBB3_51
; %bb.52:                               ;   in Loop: Header=BB3_49 Depth=4
	s_or_b32 exec_lo, exec_lo, s37
	s_branch .LBB3_48
.LBB3_53:
	s_nop 0
	s_sendmsg sendmsg(MSG_DEALLOC_VGPRS)
	s_endpgm
.LBB3_54:
                                        ; implicit-def: $sgpr24_sgpr25
	v_cvt_f32_u32_e32 v3, s4
	s_branch .LBB3_2
.LBB3_55:
                                        ; implicit-def: $vgpr1_vgpr2
	s_branch .LBB3_5
.LBB3_56:
                                        ; implicit-def: $vgpr4_vgpr5
	s_load_b32 s36, s[0:1], 0x6c
	s_branch .LBB3_8
.LBB3_57:
                                        ; implicit-def: $sgpr28_sgpr29
	s_load_b32 s31, s[0:1], 0x64
	s_branch .LBB3_12
	.section	.rodata,"a",@progbits
	.p2align	6, 0x0
	.amdhsa_kernel _ZN2at6native12_GLOBAL__N_119adaptiveaveragepoolIN3c108BFloat16EfEEvPKT_PS5_iiiiiilllllll
		.amdhsa_group_segment_fixed_size 0
		.amdhsa_private_segment_fixed_size 0
		.amdhsa_kernarg_size 352
		.amdhsa_user_sgpr_count 14
		.amdhsa_user_sgpr_dispatch_ptr 0
		.amdhsa_user_sgpr_queue_ptr 0
		.amdhsa_user_sgpr_kernarg_segment_ptr 1
		.amdhsa_user_sgpr_dispatch_id 0
		.amdhsa_user_sgpr_private_segment_size 0
		.amdhsa_wavefront_size32 1
		.amdhsa_uses_dynamic_stack 0
		.amdhsa_enable_private_segment 0
		.amdhsa_system_sgpr_workgroup_id_x 1
		.amdhsa_system_sgpr_workgroup_id_y 1
		.amdhsa_system_sgpr_workgroup_id_z 0
		.amdhsa_system_sgpr_workgroup_info 0
		.amdhsa_system_vgpr_workitem_id 1
		.amdhsa_next_free_vgpr 28
		.amdhsa_next_free_sgpr 43
		.amdhsa_reserve_vcc 1
		.amdhsa_float_round_mode_32 0
		.amdhsa_float_round_mode_16_64 0
		.amdhsa_float_denorm_mode_32 3
		.amdhsa_float_denorm_mode_16_64 3
		.amdhsa_dx10_clamp 1
		.amdhsa_ieee_mode 1
		.amdhsa_fp16_overflow 0
		.amdhsa_workgroup_processor_mode 1
		.amdhsa_memory_ordered 1
		.amdhsa_forward_progress 0
		.amdhsa_shared_vgpr_count 0
		.amdhsa_exception_fp_ieee_invalid_op 0
		.amdhsa_exception_fp_denorm_src 0
		.amdhsa_exception_fp_ieee_div_zero 0
		.amdhsa_exception_fp_ieee_overflow 0
		.amdhsa_exception_fp_ieee_underflow 0
		.amdhsa_exception_fp_ieee_inexact 0
		.amdhsa_exception_int_div_zero 0
	.end_amdhsa_kernel
	.section	.text._ZN2at6native12_GLOBAL__N_119adaptiveaveragepoolIN3c108BFloat16EfEEvPKT_PS5_iiiiiilllllll,"axG",@progbits,_ZN2at6native12_GLOBAL__N_119adaptiveaveragepoolIN3c108BFloat16EfEEvPKT_PS5_iiiiiilllllll,comdat
.Lfunc_end3:
	.size	_ZN2at6native12_GLOBAL__N_119adaptiveaveragepoolIN3c108BFloat16EfEEvPKT_PS5_iiiiiilllllll, .Lfunc_end3-_ZN2at6native12_GLOBAL__N_119adaptiveaveragepoolIN3c108BFloat16EfEEvPKT_PS5_iiiiiilllllll
                                        ; -- End function
	.section	.AMDGPU.csdata,"",@progbits
; Kernel info:
; codeLenInByte = 9668
; NumSgprs: 45
; NumVgprs: 28
; ScratchSize: 0
; MemoryBound: 0
; FloatMode: 240
; IeeeMode: 1
; LDSByteSize: 0 bytes/workgroup (compile time only)
; SGPRBlocks: 5
; VGPRBlocks: 3
; NumSGPRsForWavesPerEU: 45
; NumVGPRsForWavesPerEU: 28
; Occupancy: 16
; WaveLimiterHint : 0
; COMPUTE_PGM_RSRC2:SCRATCH_EN: 0
; COMPUTE_PGM_RSRC2:USER_SGPR: 14
; COMPUTE_PGM_RSRC2:TRAP_HANDLER: 0
; COMPUTE_PGM_RSRC2:TGID_X_EN: 1
; COMPUTE_PGM_RSRC2:TGID_Y_EN: 1
; COMPUTE_PGM_RSRC2:TGID_Z_EN: 0
; COMPUTE_PGM_RSRC2:TIDIG_COMP_CNT: 1
	.section	.text._ZN2at6native12_GLOBAL__N_130atomicadaptiveaveragegradinputIdEEvPT_PKS3_iiiiiil,"axG",@progbits,_ZN2at6native12_GLOBAL__N_130atomicadaptiveaveragegradinputIdEEvPT_PKS3_iiiiiil,comdat
	.globl	_ZN2at6native12_GLOBAL__N_130atomicadaptiveaveragegradinputIdEEvPT_PKS3_iiiiiil ; -- Begin function _ZN2at6native12_GLOBAL__N_130atomicadaptiveaveragegradinputIdEEvPT_PKS3_iiiiiil
	.p2align	8
	.type	_ZN2at6native12_GLOBAL__N_130atomicadaptiveaveragegradinputIdEEvPT_PKS3_iiiiiil,@function
_ZN2at6native12_GLOBAL__N_130atomicadaptiveaveragegradinputIdEEvPT_PKS3_iiiiiil: ; @_ZN2at6native12_GLOBAL__N_130atomicadaptiveaveragegradinputIdEEvPT_PKS3_iiiiiil
; %bb.0:
	s_load_b256 s[4:11], s[0:1], 0x10
	s_waitcnt lgkmcnt(0)
	s_add_u32 s10, s14, s10
	s_addc_u32 s11, 0, s11
	s_ashr_i32 s13, s7, 31
	s_mov_b32 s12, s7
	s_delay_alu instid0(SALU_CYCLE_1) | instskip(SKIP_1) | instid1(SALU_CYCLE_1)
	s_or_b64 s[2:3], s[10:11], s[12:13]
	s_mov_b32 s2, 0
	s_cmp_lg_u64 s[2:3], 0
	s_cbranch_scc0 .LBB4_47
; %bb.1:
	s_add_u32 s18, s12, s13
	s_mov_b32 s16, s13
	s_mov_b32 s17, s13
	s_addc_u32 s19, s13, s13
	s_delay_alu instid0(SALU_CYCLE_1) | instskip(NEXT) | instid1(SALU_CYCLE_1)
	s_xor_b64 s[18:19], s[18:19], s[16:17]
	v_cvt_f32_u32_e32 v1, s18
	v_cvt_f32_u32_e32 v2, s19
	s_sub_u32 s14, 0, s18
	s_subb_u32 s20, 0, s19
	s_delay_alu instid0(VALU_DEP_1) | instskip(NEXT) | instid1(VALU_DEP_1)
	v_fmamk_f32 v1, v2, 0x4f800000, v1
	v_rcp_f32_e32 v1, v1
	s_waitcnt_depctr 0xfff
	v_mul_f32_e32 v1, 0x5f7ffffc, v1
	s_delay_alu instid0(VALU_DEP_1) | instskip(NEXT) | instid1(VALU_DEP_1)
	v_mul_f32_e32 v2, 0x2f800000, v1
	v_trunc_f32_e32 v2, v2
	s_delay_alu instid0(VALU_DEP_1) | instskip(SKIP_1) | instid1(VALU_DEP_2)
	v_fmamk_f32 v1, v2, 0xcf800000, v1
	v_cvt_u32_f32_e32 v2, v2
	v_cvt_u32_f32_e32 v1, v1
	s_delay_alu instid0(VALU_DEP_2) | instskip(NEXT) | instid1(VALU_DEP_2)
	v_readfirstlane_b32 s3, v2
	v_readfirstlane_b32 s7, v1
	s_delay_alu instid0(VALU_DEP_2) | instskip(NEXT) | instid1(VALU_DEP_1)
	s_mul_i32 s21, s14, s3
	s_mul_hi_u32 s23, s14, s7
	s_mul_i32 s22, s20, s7
	s_add_i32 s21, s23, s21
	s_mul_i32 s24, s14, s7
	s_add_i32 s21, s21, s22
	s_mul_hi_u32 s23, s7, s24
	s_mul_hi_u32 s25, s3, s24
	s_mul_i32 s22, s3, s24
	s_mul_hi_u32 s24, s7, s21
	s_mul_i32 s7, s7, s21
	s_mul_hi_u32 s26, s3, s21
	s_add_u32 s7, s23, s7
	s_addc_u32 s23, 0, s24
	s_add_u32 s7, s7, s22
	s_mul_i32 s21, s3, s21
	s_addc_u32 s7, s23, s25
	s_addc_u32 s22, s26, 0
	s_add_u32 s7, s7, s21
	s_addc_u32 s21, 0, s22
	v_add_co_u32 v1, s7, v1, s7
	s_delay_alu instid0(VALU_DEP_1) | instskip(SKIP_1) | instid1(VALU_DEP_1)
	s_cmp_lg_u32 s7, 0
	s_addc_u32 s3, s3, s21
	v_readfirstlane_b32 s7, v1
	s_mul_i32 s21, s14, s3
	s_delay_alu instid0(VALU_DEP_1)
	s_mul_hi_u32 s22, s14, s7
	s_mul_i32 s20, s20, s7
	s_add_i32 s21, s22, s21
	s_mul_i32 s14, s14, s7
	s_add_i32 s21, s21, s20
	s_mul_hi_u32 s22, s3, s14
	s_mul_i32 s23, s3, s14
	s_mul_hi_u32 s14, s7, s14
	s_mul_hi_u32 s24, s7, s21
	s_mul_i32 s7, s7, s21
	s_mul_hi_u32 s20, s3, s21
	s_add_u32 s7, s14, s7
	s_addc_u32 s14, 0, s24
	s_add_u32 s7, s7, s23
	s_mul_i32 s21, s3, s21
	s_addc_u32 s7, s14, s22
	s_addc_u32 s14, s20, 0
	s_add_u32 s7, s7, s21
	s_addc_u32 s14, 0, s14
	v_add_co_u32 v1, s7, v1, s7
	s_delay_alu instid0(VALU_DEP_1) | instskip(SKIP_2) | instid1(VALU_DEP_1)
	s_cmp_lg_u32 s7, 0
	s_addc_u32 s3, s3, s14
	s_ashr_i32 s20, s11, 31
	v_readfirstlane_b32 s7, v1
	s_add_u32 s22, s10, s20
	s_mov_b32 s21, s20
	s_addc_u32 s23, s11, s20
	s_delay_alu instid0(SALU_CYCLE_1) | instskip(NEXT) | instid1(SALU_CYCLE_1)
	s_xor_b64 s[22:23], s[22:23], s[20:21]
	s_mul_i32 s24, s22, s3
	s_mul_hi_u32 s25, s22, s7
	s_mul_hi_u32 s14, s22, s3
	;; [unrolled: 1-line block ×3, first 2 shown]
	s_mul_i32 s7, s23, s7
	s_add_u32 s24, s25, s24
	s_addc_u32 s14, 0, s14
	s_mul_hi_u32 s26, s23, s3
	s_add_u32 s7, s24, s7
	s_mul_i32 s3, s23, s3
	s_addc_u32 s7, s14, s27
	s_addc_u32 s14, s26, 0
	s_add_u32 s3, s7, s3
	s_addc_u32 s7, 0, s14
	s_mul_i32 s26, s18, s3
	s_mul_hi_u32 s14, s18, s3
	s_mul_i32 s25, s18, s7
	v_sub_co_u32 v1, s22, s22, s26
	s_mul_i32 s24, s19, s3
	s_add_i32 s14, s14, s25
	s_delay_alu instid0(SALU_CYCLE_1) | instskip(NEXT) | instid1(VALU_DEP_1)
	s_add_i32 s14, s14, s24
	v_sub_co_u32 v2, s25, v1, s18
	s_sub_i32 s24, s23, s14
	s_cmp_lg_u32 s22, 0
	s_subb_u32 s24, s24, s19
	s_cmp_lg_u32 s25, 0
	v_readfirstlane_b32 s25, v2
	s_subb_u32 s24, s24, 0
	s_delay_alu instid0(SALU_CYCLE_1) | instskip(SKIP_1) | instid1(VALU_DEP_1)
	s_cmp_ge_u32 s24, s19
	s_cselect_b32 s26, -1, 0
	s_cmp_ge_u32 s25, s18
	s_cselect_b32 s25, -1, 0
	s_cmp_eq_u32 s24, s19
	s_cselect_b32 s24, s25, s26
	s_add_u32 s25, s3, 1
	s_addc_u32 s26, s7, 0
	s_add_u32 s27, s3, 2
	s_addc_u32 s28, s7, 0
	s_cmp_lg_u32 s24, 0
	s_cselect_b32 s24, s27, s25
	s_cselect_b32 s25, s28, s26
	s_cmp_lg_u32 s22, 0
	v_readfirstlane_b32 s22, v1
	s_subb_u32 s14, s23, s14
	s_delay_alu instid0(SALU_CYCLE_1) | instskip(SKIP_1) | instid1(VALU_DEP_1)
	s_cmp_ge_u32 s14, s19
	s_cselect_b32 s23, -1, 0
	s_cmp_ge_u32 s22, s18
	s_cselect_b32 s18, -1, 0
	s_cmp_eq_u32 s14, s19
	s_cselect_b32 s14, s18, s23
	s_delay_alu instid0(SALU_CYCLE_1) | instskip(SKIP_3) | instid1(SALU_CYCLE_1)
	s_cmp_lg_u32 s14, 0
	s_cselect_b32 s19, s25, s7
	s_cselect_b32 s18, s24, s3
	s_xor_b64 s[16:17], s[20:21], s[16:17]
	s_xor_b64 s[18:19], s[18:19], s[16:17]
	s_delay_alu instid0(SALU_CYCLE_1)
	s_sub_u32 s16, s18, s16
	s_subb_u32 s17, s19, s17
	s_and_not1_b32 vcc_lo, exec_lo, s2
	s_cbranch_vccnz .LBB4_3
.LBB4_2:
	v_cvt_f32_u32_e32 v1, s12
	s_sub_i32 s3, 0, s12
	s_mov_b32 s17, 0
	s_delay_alu instid0(VALU_DEP_1) | instskip(SKIP_2) | instid1(VALU_DEP_1)
	v_rcp_iflag_f32_e32 v1, v1
	s_waitcnt_depctr 0xfff
	v_mul_f32_e32 v1, 0x4f7ffffe, v1
	v_cvt_u32_f32_e32 v1, v1
	s_delay_alu instid0(VALU_DEP_1) | instskip(NEXT) | instid1(VALU_DEP_1)
	v_readfirstlane_b32 s2, v1
	s_mul_i32 s3, s3, s2
	s_delay_alu instid0(SALU_CYCLE_1) | instskip(NEXT) | instid1(SALU_CYCLE_1)
	s_mul_hi_u32 s3, s2, s3
	s_add_i32 s2, s2, s3
	s_delay_alu instid0(SALU_CYCLE_1) | instskip(NEXT) | instid1(SALU_CYCLE_1)
	s_mul_hi_u32 s2, s10, s2
	s_mul_i32 s3, s2, s12
	s_add_i32 s7, s2, 1
	s_sub_i32 s3, s10, s3
	s_delay_alu instid0(SALU_CYCLE_1)
	s_sub_i32 s14, s3, s12
	s_cmp_ge_u32 s3, s12
	s_cselect_b32 s2, s7, s2
	s_cselect_b32 s3, s14, s3
	s_add_i32 s7, s2, 1
	s_cmp_ge_u32 s3, s12
	s_cselect_b32 s16, s7, s2
.LBB4_3:
	s_delay_alu instid0(SALU_CYCLE_1) | instskip(SKIP_4) | instid1(SALU_CYCLE_1)
	s_mul_i32 s2, s16, s13
	s_mul_hi_u32 s3, s16, s12
	s_mul_i32 s7, s16, s12
	s_add_i32 s2, s3, s2
	s_mul_i32 s3, s17, s12
	s_add_i32 s2, s2, s3
	s_sub_u32 s3, s10, s7
	s_subb_u32 s2, s11, s2
	s_ashr_i32 s7, s4, 31
	s_mul_hi_u32 s17, s3, s4
	s_mul_i32 s14, s3, s7
	s_mul_i32 s2, s2, s4
	s_add_i32 s14, s17, s14
	s_mul_i32 s18, s3, s4
	s_add_i32 s19, s14, s2
	s_mov_b32 s14, s4
	s_or_b64 s[20:21], s[18:19], s[12:13]
	s_mov_b32 s20, 0
	s_delay_alu instid0(SALU_CYCLE_1)
	s_cmp_lg_u64 s[20:21], 0
	s_cbranch_scc0 .LBB4_48
; %bb.4:
	s_add_u32 s2, s12, s13
	s_mov_b32 s22, s13
	s_mov_b32 s23, s13
	s_addc_u32 s3, s13, s13
	s_delay_alu instid0(SALU_CYCLE_1) | instskip(NEXT) | instid1(SALU_CYCLE_1)
	s_xor_b64 s[2:3], s[2:3], s[22:23]
	v_cvt_f32_u32_e32 v1, s2
	v_cvt_f32_u32_e32 v2, s3
	s_sub_u32 s24, 0, s2
	s_subb_u32 s25, 0, s3
	s_delay_alu instid0(VALU_DEP_1) | instskip(NEXT) | instid1(VALU_DEP_1)
	v_fmamk_f32 v1, v2, 0x4f800000, v1
	v_rcp_f32_e32 v1, v1
	s_waitcnt_depctr 0xfff
	v_mul_f32_e32 v1, 0x5f7ffffc, v1
	s_delay_alu instid0(VALU_DEP_1) | instskip(NEXT) | instid1(VALU_DEP_1)
	v_mul_f32_e32 v2, 0x2f800000, v1
	v_trunc_f32_e32 v2, v2
	s_delay_alu instid0(VALU_DEP_1) | instskip(SKIP_1) | instid1(VALU_DEP_2)
	v_fmamk_f32 v1, v2, 0xcf800000, v1
	v_cvt_u32_f32_e32 v2, v2
	v_cvt_u32_f32_e32 v1, v1
	s_delay_alu instid0(VALU_DEP_2) | instskip(NEXT) | instid1(VALU_DEP_2)
	v_readfirstlane_b32 s17, v2
	v_readfirstlane_b32 s21, v1
	s_delay_alu instid0(VALU_DEP_2) | instskip(NEXT) | instid1(VALU_DEP_1)
	s_mul_i32 s26, s24, s17
	s_mul_hi_u32 s28, s24, s21
	s_mul_i32 s27, s25, s21
	s_add_i32 s26, s28, s26
	s_mul_i32 s29, s24, s21
	s_add_i32 s26, s26, s27
	s_mul_hi_u32 s28, s21, s29
	s_mul_hi_u32 s30, s17, s29
	s_mul_i32 s27, s17, s29
	s_mul_hi_u32 s29, s21, s26
	s_mul_i32 s21, s21, s26
	s_mul_hi_u32 s31, s17, s26
	s_add_u32 s21, s28, s21
	s_addc_u32 s28, 0, s29
	s_add_u32 s21, s21, s27
	s_mul_i32 s26, s17, s26
	s_addc_u32 s21, s28, s30
	s_addc_u32 s27, s31, 0
	s_add_u32 s21, s21, s26
	s_addc_u32 s26, 0, s27
	v_add_co_u32 v1, s21, v1, s21
	s_delay_alu instid0(VALU_DEP_1) | instskip(SKIP_1) | instid1(VALU_DEP_1)
	s_cmp_lg_u32 s21, 0
	s_addc_u32 s17, s17, s26
	v_readfirstlane_b32 s21, v1
	s_mul_i32 s26, s24, s17
	s_delay_alu instid0(VALU_DEP_1)
	s_mul_hi_u32 s27, s24, s21
	s_mul_i32 s25, s25, s21
	s_add_i32 s26, s27, s26
	s_mul_i32 s24, s24, s21
	s_add_i32 s26, s26, s25
	s_mul_hi_u32 s27, s17, s24
	s_mul_i32 s28, s17, s24
	s_mul_hi_u32 s24, s21, s24
	s_mul_hi_u32 s29, s21, s26
	s_mul_i32 s21, s21, s26
	s_mul_hi_u32 s25, s17, s26
	s_add_u32 s21, s24, s21
	s_addc_u32 s24, 0, s29
	s_add_u32 s21, s21, s28
	s_mul_i32 s26, s17, s26
	s_addc_u32 s21, s24, s27
	s_addc_u32 s24, s25, 0
	s_add_u32 s21, s21, s26
	s_addc_u32 s24, 0, s24
	v_add_co_u32 v1, s21, v1, s21
	s_delay_alu instid0(VALU_DEP_1) | instskip(SKIP_2) | instid1(VALU_DEP_1)
	s_cmp_lg_u32 s21, 0
	s_addc_u32 s17, s17, s24
	s_ashr_i32 s24, s19, 31
	v_readfirstlane_b32 s21, v1
	s_add_u32 s26, s18, s24
	s_mov_b32 s25, s24
	s_addc_u32 s27, s19, s24
	s_delay_alu instid0(SALU_CYCLE_1) | instskip(NEXT) | instid1(SALU_CYCLE_1)
	s_xor_b64 s[26:27], s[26:27], s[24:25]
	s_mul_i32 s29, s26, s17
	s_mul_hi_u32 s30, s26, s21
	s_mul_hi_u32 s28, s26, s17
	;; [unrolled: 1-line block ×3, first 2 shown]
	s_mul_i32 s21, s27, s21
	s_add_u32 s29, s30, s29
	s_addc_u32 s28, 0, s28
	s_mul_hi_u32 s31, s27, s17
	s_add_u32 s21, s29, s21
	s_mul_i32 s17, s27, s17
	s_addc_u32 s21, s28, s33
	s_addc_u32 s28, s31, 0
	s_add_u32 s17, s21, s17
	s_addc_u32 s21, 0, s28
	s_mul_hi_u32 s28, s2, s17
	s_mul_i32 s21, s2, s21
	s_mul_i32 s30, s2, s17
	;; [unrolled: 1-line block ×3, first 2 shown]
	s_add_i32 s21, s28, s21
	v_sub_co_u32 v1, s26, s26, s30
	s_add_i32 s21, s21, s29
	s_delay_alu instid0(SALU_CYCLE_1) | instskip(SKIP_1) | instid1(VALU_DEP_1)
	s_sub_i32 s28, s27, s21
	s_cmp_lg_u32 s26, 0
	v_sub_co_u32 v2, s29, v1, s2
	s_subb_u32 s28, s28, s3
	s_cmp_lg_u32 s29, 0
	s_subb_u32 s28, s28, 0
	s_delay_alu instid0(VALU_DEP_1)
	v_cmp_le_u32_e32 vcc_lo, s2, v2
	s_cmp_ge_u32 s28, s3
	v_cmp_le_u32_e64 s2, s2, v1
	s_cselect_b32 s29, -1, 0
	s_cmp_eq_u32 s28, s3
	v_cndmask_b32_e64 v2, 0, -1, vcc_lo
	s_cselect_b32 vcc_lo, -1, 0
	s_add_u32 s28, s17, 1
	s_add_u32 s30, s17, 2
	s_cmp_lg_u32 s26, 0
	v_mov_b32_e32 v3, s30
	v_cndmask_b32_e64 v1, 0, -1, s2
	s_subb_u32 s2, s27, s21
	v_cndmask_b32_e32 v2, s29, v2, vcc_lo
	s_cmp_ge_u32 s2, s3
	s_cselect_b32 s21, -1, 0
	s_cmp_eq_u32 s2, s3
	s_cselect_b32 vcc_lo, -1, 0
	s_xor_b64 s[2:3], s[24:25], s[22:23]
	v_cndmask_b32_e32 v1, s21, v1, vcc_lo
	v_cmp_ne_u32_e32 vcc_lo, 0, v2
	v_cndmask_b32_e32 v2, s28, v3, vcc_lo
	s_delay_alu instid0(VALU_DEP_3) | instskip(NEXT) | instid1(VALU_DEP_2)
	v_cmp_ne_u32_e32 vcc_lo, 0, v1
	v_cndmask_b32_e32 v1, s17, v2, vcc_lo
	s_delay_alu instid0(VALU_DEP_1) | instskip(NEXT) | instid1(VALU_DEP_1)
	v_xor_b32_e32 v1, s2, v1
	v_sub_co_u32 v1, vcc_lo, v1, s2
	s_load_b32 s24, s[0:1], 0x3c
	s_and_not1_b32 vcc_lo, exec_lo, s20
	s_cbranch_vccnz .LBB4_6
.LBB4_5:
	v_cvt_f32_u32_e32 v1, s12
	s_sub_i32 s2, 0, s12
	s_delay_alu instid0(VALU_DEP_1) | instskip(SKIP_2) | instid1(VALU_DEP_1)
	v_rcp_iflag_f32_e32 v1, v1
	s_waitcnt_depctr 0xfff
	v_mul_f32_e32 v1, 0x4f7ffffe, v1
	v_cvt_u32_f32_e32 v1, v1
	s_delay_alu instid0(VALU_DEP_1) | instskip(NEXT) | instid1(VALU_DEP_1)
	v_mul_lo_u32 v2, s2, v1
	v_mul_hi_u32 v2, v1, v2
	s_delay_alu instid0(VALU_DEP_1) | instskip(NEXT) | instid1(VALU_DEP_1)
	v_add_nc_u32_e32 v1, v1, v2
	v_mul_hi_u32 v1, s18, v1
	s_delay_alu instid0(VALU_DEP_1) | instskip(SKIP_1) | instid1(VALU_DEP_2)
	v_mul_lo_u32 v2, v1, s12
	v_add_nc_u32_e32 v3, 1, v1
	v_sub_nc_u32_e32 v2, s18, v2
	s_delay_alu instid0(VALU_DEP_1) | instskip(SKIP_1) | instid1(VALU_DEP_2)
	v_subrev_nc_u32_e32 v4, s12, v2
	v_cmp_le_u32_e32 vcc_lo, s12, v2
	v_dual_cndmask_b32 v2, v2, v4 :: v_dual_cndmask_b32 v1, v1, v3
	s_delay_alu instid0(VALU_DEP_1) | instskip(NEXT) | instid1(VALU_DEP_2)
	v_cmp_le_u32_e32 vcc_lo, s12, v2
	v_add_nc_u32_e32 v3, 1, v1
	s_delay_alu instid0(VALU_DEP_1)
	v_cndmask_b32_e32 v1, v1, v3, vcc_lo
.LBB4_6:
	v_bfe_u32 v2, v0, 10, 10
	s_waitcnt lgkmcnt(0)
	s_lshr_b32 s22, s24, 16
	s_mov_b32 s2, exec_lo
	s_delay_alu instid0(VALU_DEP_1) | instskip(NEXT) | instid1(VALU_DEP_1)
	v_mad_u64_u32 v[4:5], null, s15, s22, v[2:3]
	v_cmpx_gt_i32_e64 s8, v4
	s_cbranch_execz .LBB4_46
; %bb.7:
	s_add_u32 s2, s18, s14
	s_addc_u32 s3, s19, s7
	s_add_u32 s14, s2, -1
	s_addc_u32 s15, s3, -1
	s_delay_alu instid0(SALU_CYCLE_1) | instskip(SKIP_1) | instid1(SALU_CYCLE_1)
	s_or_b64 s[18:19], s[14:15], s[12:13]
	s_mov_b32 s18, 0
	s_cmp_lg_u64 s[18:19], 0
	s_cbranch_scc0 .LBB4_49
; %bb.8:
	s_add_u32 s2, s12, s13
	s_mov_b32 s20, s13
	s_mov_b32 s21, s13
	s_addc_u32 s3, s13, s13
	s_delay_alu instid0(SALU_CYCLE_1) | instskip(NEXT) | instid1(SALU_CYCLE_1)
	s_xor_b64 s[2:3], s[2:3], s[20:21]
	v_cvt_f32_u32_e32 v2, s2
	v_cvt_f32_u32_e32 v3, s3
	s_sub_u32 s17, 0, s2
	s_subb_u32 s19, 0, s3
	s_delay_alu instid0(VALU_DEP_1) | instskip(NEXT) | instid1(VALU_DEP_1)
	v_fmamk_f32 v2, v3, 0x4f800000, v2
	v_rcp_f32_e32 v2, v2
	s_waitcnt_depctr 0xfff
	v_mul_f32_e32 v2, 0x5f7ffffc, v2
	s_delay_alu instid0(VALU_DEP_1) | instskip(NEXT) | instid1(VALU_DEP_1)
	v_mul_f32_e32 v3, 0x2f800000, v2
	v_trunc_f32_e32 v3, v3
	s_delay_alu instid0(VALU_DEP_1) | instskip(SKIP_1) | instid1(VALU_DEP_2)
	v_fmamk_f32 v2, v3, 0xcf800000, v2
	v_cvt_u32_f32_e32 v3, v3
	v_cvt_u32_f32_e32 v2, v2
	s_delay_alu instid0(VALU_DEP_2) | instskip(NEXT) | instid1(VALU_DEP_2)
	v_readfirstlane_b32 s7, v3
	v_readfirstlane_b32 s13, v2
	s_delay_alu instid0(VALU_DEP_2) | instskip(NEXT) | instid1(VALU_DEP_1)
	s_mul_i32 s23, s17, s7
	s_mul_hi_u32 s26, s17, s13
	s_mul_i32 s25, s19, s13
	s_add_i32 s23, s26, s23
	s_mul_i32 s27, s17, s13
	s_add_i32 s23, s23, s25
	s_mul_hi_u32 s26, s13, s27
	s_mul_hi_u32 s28, s7, s27
	s_mul_i32 s25, s7, s27
	s_mul_hi_u32 s27, s13, s23
	s_mul_i32 s13, s13, s23
	s_mul_hi_u32 s29, s7, s23
	s_add_u32 s13, s26, s13
	s_addc_u32 s26, 0, s27
	s_add_u32 s13, s13, s25
	s_mul_i32 s23, s7, s23
	s_addc_u32 s13, s26, s28
	s_addc_u32 s25, s29, 0
	s_add_u32 s13, s13, s23
	s_addc_u32 s23, 0, s25
	v_add_co_u32 v2, s13, v2, s13
	s_delay_alu instid0(VALU_DEP_1) | instskip(SKIP_1) | instid1(VALU_DEP_1)
	s_cmp_lg_u32 s13, 0
	s_addc_u32 s7, s7, s23
	v_readfirstlane_b32 s13, v2
	s_mul_i32 s23, s17, s7
	s_delay_alu instid0(VALU_DEP_1)
	s_mul_hi_u32 s25, s17, s13
	s_mul_i32 s19, s19, s13
	s_add_i32 s23, s25, s23
	s_mul_i32 s17, s17, s13
	s_add_i32 s23, s23, s19
	s_mul_hi_u32 s25, s7, s17
	s_mul_i32 s26, s7, s17
	s_mul_hi_u32 s17, s13, s17
	s_mul_hi_u32 s27, s13, s23
	s_mul_i32 s13, s13, s23
	s_mul_hi_u32 s19, s7, s23
	s_add_u32 s13, s17, s13
	s_addc_u32 s17, 0, s27
	s_add_u32 s13, s13, s26
	s_mul_i32 s23, s7, s23
	s_addc_u32 s13, s17, s25
	s_addc_u32 s17, s19, 0
	s_add_u32 s13, s13, s23
	s_addc_u32 s17, 0, s17
	v_add_co_u32 v2, s13, v2, s13
	s_delay_alu instid0(VALU_DEP_1) | instskip(SKIP_2) | instid1(VALU_DEP_1)
	s_cmp_lg_u32 s13, 0
	s_addc_u32 s7, s7, s17
	s_ashr_i32 s26, s15, 31
	v_readfirstlane_b32 s13, v2
	s_add_u32 s28, s14, s26
	s_mov_b32 s27, s26
	s_addc_u32 s29, s15, s26
	s_delay_alu instid0(SALU_CYCLE_1) | instskip(NEXT) | instid1(SALU_CYCLE_1)
	s_xor_b64 s[28:29], s[28:29], s[26:27]
	s_mul_i32 s17, s28, s7
	s_mul_hi_u32 s19, s28, s13
	s_mul_hi_u32 s15, s28, s7
	;; [unrolled: 1-line block ×3, first 2 shown]
	s_mul_i32 s13, s29, s13
	s_add_u32 s17, s19, s17
	s_addc_u32 s15, 0, s15
	s_mul_hi_u32 s23, s29, s7
	s_add_u32 s13, s17, s13
	s_mul_i32 s7, s29, s7
	s_addc_u32 s13, s15, s25
	s_addc_u32 s15, s23, 0
	s_add_u32 s7, s13, s7
	s_addc_u32 s13, 0, s15
	s_mul_hi_u32 s15, s2, s7
	s_mul_i32 s13, s2, s13
	s_mul_i32 s19, s2, s7
	;; [unrolled: 1-line block ×3, first 2 shown]
	s_add_i32 s13, s15, s13
	v_sub_co_u32 v2, s15, s28, s19
	s_add_i32 s13, s13, s17
	s_delay_alu instid0(SALU_CYCLE_1) | instskip(SKIP_1) | instid1(VALU_DEP_1)
	s_sub_i32 s17, s29, s13
	s_cmp_lg_u32 s15, 0
	v_sub_co_u32 v3, s19, v2, s2
	s_subb_u32 s17, s17, s3
	s_cmp_lg_u32 s19, 0
	s_subb_u32 s17, s17, 0
	s_delay_alu instid0(VALU_DEP_1)
	v_cmp_le_u32_e32 vcc_lo, s2, v3
	s_cmp_ge_u32 s17, s3
	v_cmp_le_u32_e64 s2, s2, v2
	s_cselect_b32 s19, -1, 0
	s_cmp_eq_u32 s17, s3
	v_cndmask_b32_e64 v3, 0, -1, vcc_lo
	s_cselect_b32 vcc_lo, -1, 0
	s_add_u32 s17, s7, 1
	s_add_u32 s23, s7, 2
	s_cmp_lg_u32 s15, 0
	v_mov_b32_e32 v5, s23
	v_cndmask_b32_e64 v2, 0, -1, s2
	s_subb_u32 s2, s29, s13
	v_cndmask_b32_e32 v3, s19, v3, vcc_lo
	s_cmp_ge_u32 s2, s3
	s_cselect_b32 s13, -1, 0
	s_cmp_eq_u32 s2, s3
	s_cselect_b32 vcc_lo, -1, 0
	s_xor_b64 s[2:3], s[26:27], s[20:21]
	v_cndmask_b32_e32 v2, s13, v2, vcc_lo
	v_cmp_ne_u32_e32 vcc_lo, 0, v3
	v_cndmask_b32_e32 v3, s17, v5, vcc_lo
	s_delay_alu instid0(VALU_DEP_3) | instskip(NEXT) | instid1(VALU_DEP_2)
	v_cmp_ne_u32_e32 vcc_lo, 0, v2
	v_cndmask_b32_e32 v2, s7, v3, vcc_lo
	s_delay_alu instid0(VALU_DEP_1) | instskip(NEXT) | instid1(VALU_DEP_1)
	v_xor_b32_e32 v2, s2, v2
	v_sub_co_u32 v2, vcc_lo, v2, s2
	s_load_b32 s3, s[0:1], 0x34
	s_and_not1_b32 vcc_lo, exec_lo, s18
	s_cbranch_vccnz .LBB4_10
.LBB4_9:
	v_cvt_f32_u32_e32 v2, s12
	s_sub_i32 s2, 0, s12
	s_delay_alu instid0(VALU_DEP_1) | instskip(SKIP_2) | instid1(VALU_DEP_1)
	v_rcp_iflag_f32_e32 v2, v2
	s_waitcnt_depctr 0xfff
	v_mul_f32_e32 v2, 0x4f7ffffe, v2
	v_cvt_u32_f32_e32 v2, v2
	s_delay_alu instid0(VALU_DEP_1) | instskip(NEXT) | instid1(VALU_DEP_1)
	v_mul_lo_u32 v3, s2, v2
	v_mul_hi_u32 v3, v2, v3
	s_delay_alu instid0(VALU_DEP_1) | instskip(NEXT) | instid1(VALU_DEP_1)
	v_add_nc_u32_e32 v2, v2, v3
	v_mul_hi_u32 v2, s14, v2
	s_delay_alu instid0(VALU_DEP_1) | instskip(SKIP_1) | instid1(VALU_DEP_2)
	v_mul_lo_u32 v3, v2, s12
	v_add_nc_u32_e32 v5, 1, v2
	v_sub_nc_u32_e32 v3, s14, v3
	s_delay_alu instid0(VALU_DEP_1) | instskip(SKIP_1) | instid1(VALU_DEP_2)
	v_subrev_nc_u32_e32 v6, s12, v3
	v_cmp_le_u32_e32 vcc_lo, s12, v3
	v_dual_cndmask_b32 v3, v3, v6 :: v_dual_cndmask_b32 v2, v2, v5
	s_delay_alu instid0(VALU_DEP_1) | instskip(NEXT) | instid1(VALU_DEP_2)
	v_cmp_le_u32_e32 vcc_lo, s12, v3
	v_add_nc_u32_e32 v5, 1, v2
	s_delay_alu instid0(VALU_DEP_1)
	v_cndmask_b32_e32 v2, v2, v5, vcc_lo
.LBB4_10:
	s_load_b128 s[12:15], s[0:1], 0x0
	s_mul_i32 s0, s9, s8
	s_mul_hi_i32 s1, s9, s8
	s_mul_i32 s11, s0, s11
	s_mul_hi_u32 s17, s0, s10
	s_mul_i32 s1, s1, s10
	s_add_i32 s11, s17, s11
	s_mul_i32 s0, s0, s10
	s_add_i32 s1, s11, s1
	s_ashr_i32 s7, s8, 31
	s_lshl_b64 s[0:1], s[0:1], 3
	s_ashr_i32 s17, s9, 31
	s_mul_i32 s4, s16, s4
	s_mov_b32 s16, s8
	v_sub_nc_u32_e32 v2, v2, v1
	v_cvt_f32_u32_e32 v6, s16
	v_dual_mov_b32 v8, 0 :: v_dual_add_nc_u32 v1, s4, v1
	s_mul_i32 s2, s6, s5
	s_delay_alu instid0(VALU_DEP_3)
	v_add_nc_u32_e32 v7, 1, v2
	s_waitcnt lgkmcnt(0)
	s_add_u32 s14, s14, s0
	s_addc_u32 s15, s15, s1
	s_ashr_i32 s19, s8, 31
	s_abs_i32 s20, s9
	s_add_i32 s0, s8, s19
	v_cvt_f32_u32_e32 v3, s20
	s_xor_b32 s21, s0, s19
	v_rcp_iflag_f32_e32 v10, v6
	v_cvt_f32_u32_e32 v5, s21
	v_and_b32_e32 v15, 0x3ff, v0
	v_rcp_iflag_f32_e32 v3, v3
	v_mul_lo_u32 v0, s2, v1
	s_mul_i32 s22, s3, s22
	v_rcp_iflag_f32_e32 v9, v5
	v_cvt_f64_i32_e32 v[5:6], v7
	s_sub_i32 s1, 0, s8
	s_sub_i32 s3, 0, s20
	;; [unrolled: 1-line block ×3, first 2 shown]
	v_mul_f32_e32 v10, 0x4f7ffffe, v10
	v_ashrrev_i32_e32 v1, 31, v0
	s_waitcnt_depctr 0xfff
	v_mul_f32_e32 v3, 0x4f7ffffe, v3
	v_max_i32_e32 v16, 1, v7
	v_cmp_gt_i32_e64 s0, s9, v15
	v_mul_f32_e32 v9, 0x4f7ffffe, v9
	v_cvt_u32_f32_e32 v10, v10
	v_cvt_u32_f32_e32 v3, v3
	v_lshlrev_b64 v[0:1], 3, v[0:1]
	s_mov_b32 s18, s9
	v_cvt_u32_f32_e32 v9, v9
	v_mul_lo_u32 v13, s1, v10
	v_mul_lo_u32 v11, s3, v3
	v_cmp_gt_u32_e64 s1, 0x7fffffff, v2
	v_add_co_u32 v17, vcc_lo, s12, v0
	v_mul_lo_u32 v12, s4, v9
	v_add_co_ci_u32_e32 v18, vcc_lo, s13, v1, vcc_lo
	s_ashr_i32 s3, s2, 31
	v_mul_hi_u32 v2, v3, v11
	v_mul_hi_u32 v11, v10, v13
	s_mov_b32 s23, s5
	s_and_b32 s24, s24, 0xffff
	s_delay_alu instid0(VALU_DEP_4)
	v_mul_hi_u32 v7, v9, v12
	s_ashr_i32 s25, s5, 31
	s_ashr_i32 s26, s6, 31
	s_mov_b32 s27, 0
	v_add_nc_u32_e32 v19, v3, v2
	v_add_nc_u32_e32 v21, v10, v11
	s_lshl_b64 s[10:11], s[2:3], 3
	s_delay_alu instid0(VALU_DEP_3)
	v_add_nc_u32_e32 v20, v9, v7
	s_branch .LBB4_12
.LBB4_11:                               ;   in Loop: Header=BB4_12 Depth=1
	s_or_b32 exec_lo, exec_lo, s28
	v_add_nc_u32_e32 v4, s22, v4
	s_delay_alu instid0(VALU_DEP_1) | instskip(SKIP_1) | instid1(SALU_CYCLE_1)
	v_cmp_le_i32_e32 vcc_lo, s8, v4
	s_or_b32 s27, vcc_lo, s27
	s_and_not1_b32 exec_lo, exec_lo, s27
	s_cbranch_execz .LBB4_46
.LBB4_12:                               ; =>This Loop Header: Depth=1
                                        ;     Child Loop BB4_27 Depth 2
                                        ;       Child Loop BB4_38 Depth 3
                                        ;         Child Loop BB4_41 Depth 4
                                        ;           Child Loop BB4_43 Depth 5
                                        ;             Child Loop BB4_44 Depth 6
	v_ashrrev_i32_e32 v3, 31, v4
	v_mov_b32_e32 v0, v8
	s_delay_alu instid0(VALU_DEP_2) | instskip(NEXT) | instid1(VALU_DEP_1)
	v_or_b32_e32 v1, s7, v3
	v_cmp_ne_u64_e32 vcc_lo, 0, v[0:1]
                                        ; implicit-def: $vgpr0_vgpr1
	s_and_saveexec_b32 s2, vcc_lo
	s_delay_alu instid0(SALU_CYCLE_1)
	s_xor_b32 s2, exec_lo, s2
	s_cbranch_execz .LBB4_14
; %bb.13:                               ;   in Loop: Header=BB4_12 Depth=1
	v_ashrrev_i32_e32 v0, 31, v4
	s_delay_alu instid0(VALU_DEP_1) | instskip(NEXT) | instid1(VALU_DEP_1)
	v_add_nc_u32_e32 v1, v4, v0
	v_xor_b32_e32 v1, v1, v0
	v_xor_b32_e32 v0, s19, v0
	s_delay_alu instid0(VALU_DEP_2) | instskip(NEXT) | instid1(VALU_DEP_1)
	v_mul_hi_u32 v2, v1, v20
	v_mul_lo_u32 v7, v2, s21
	s_delay_alu instid0(VALU_DEP_1) | instskip(SKIP_1) | instid1(VALU_DEP_2)
	v_sub_nc_u32_e32 v1, v1, v7
	v_add_nc_u32_e32 v7, 1, v2
	v_subrev_nc_u32_e32 v9, s21, v1
	v_cmp_le_u32_e32 vcc_lo, s21, v1
	s_delay_alu instid0(VALU_DEP_2) | instskip(NEXT) | instid1(VALU_DEP_1)
	v_dual_cndmask_b32 v2, v2, v7 :: v_dual_cndmask_b32 v1, v1, v9
	v_add_nc_u32_e32 v7, 1, v2
	s_delay_alu instid0(VALU_DEP_2) | instskip(NEXT) | instid1(VALU_DEP_2)
	v_cmp_le_u32_e32 vcc_lo, s21, v1
	v_cndmask_b32_e32 v1, v2, v7, vcc_lo
	s_delay_alu instid0(VALU_DEP_1) | instskip(NEXT) | instid1(VALU_DEP_1)
	v_xor_b32_e32 v1, v1, v0
	v_sub_nc_u32_e32 v0, v1, v0
	s_delay_alu instid0(VALU_DEP_1)
	v_ashrrev_i32_e32 v1, 31, v0
.LBB4_14:                               ;   in Loop: Header=BB4_12 Depth=1
	s_and_not1_saveexec_b32 s2, s2
; %bb.15:                               ;   in Loop: Header=BB4_12 Depth=1
	v_mul_hi_u32 v0, v4, v21
	s_delay_alu instid0(VALU_DEP_1) | instskip(NEXT) | instid1(VALU_DEP_1)
	v_mul_lo_u32 v1, v0, s16
	v_sub_nc_u32_e32 v1, v4, v1
	s_delay_alu instid0(VALU_DEP_1) | instskip(SKIP_1) | instid1(VALU_DEP_2)
	v_subrev_nc_u32_e32 v7, s16, v1
	v_cmp_le_u32_e32 vcc_lo, s16, v1
	v_dual_cndmask_b32 v1, v1, v7 :: v_dual_add_nc_u32 v2, 1, v0
	s_delay_alu instid0(VALU_DEP_1) | instskip(NEXT) | instid1(VALU_DEP_2)
	v_cndmask_b32_e32 v0, v0, v2, vcc_lo
	v_cmp_le_u32_e32 vcc_lo, s16, v1
	s_delay_alu instid0(VALU_DEP_2) | instskip(NEXT) | instid1(VALU_DEP_1)
	v_add_nc_u32_e32 v2, 1, v0
	v_cndmask_b32_e32 v7, v0, v2, vcc_lo
	s_delay_alu instid0(VALU_DEP_1)
	v_dual_mov_b32 v0, v7 :: v_dual_mov_b32 v1, v8
; %bb.16:                               ;   in Loop: Header=BB4_12 Depth=1
	s_or_b32 exec_lo, exec_lo, s2
	s_delay_alu instid0(VALU_DEP_1) | instskip(NEXT) | instid1(VALU_DEP_2)
	v_mul_lo_u32 v7, v1, s16
	v_mul_lo_u32 v9, v0, s7
	v_mad_u64_u32 v[1:2], null, v0, s16, 0
	s_delay_alu instid0(VALU_DEP_1) | instskip(NEXT) | instid1(VALU_DEP_2)
	v_add3_u32 v2, v2, v9, v7
	v_sub_co_u32 v1, vcc_lo, v4, v1
	s_delay_alu instid0(VALU_DEP_2) | instskip(NEXT) | instid1(VALU_DEP_2)
	v_sub_co_ci_u32_e32 v2, vcc_lo, v3, v2, vcc_lo
	v_mul_lo_u32 v7, v1, s25
	v_mad_u64_u32 v[9:10], null, v1, s23, 0
	s_delay_alu instid0(VALU_DEP_3) | instskip(NEXT) | instid1(VALU_DEP_1)
	v_mul_lo_u32 v1, v2, s23
	v_add3_u32 v10, v10, v7, v1
	v_mov_b32_e32 v1, v8
	s_delay_alu instid0(VALU_DEP_2) | instskip(NEXT) | instid1(VALU_DEP_1)
	v_or_b32_e32 v2, s7, v10
	v_cmp_ne_u64_e32 vcc_lo, 0, v[1:2]
                                        ; implicit-def: $vgpr1_vgpr2
	s_and_saveexec_b32 s2, vcc_lo
	s_delay_alu instid0(SALU_CYCLE_1)
	s_xor_b32 s3, exec_lo, s2
	s_cbranch_execz .LBB4_18
; %bb.17:                               ;   in Loop: Header=BB4_12 Depth=1
	s_add_u32 s12, s16, s7
	s_mov_b32 s4, s7
	s_mov_b32 s5, s7
	s_addc_u32 s13, s7, s7
	s_delay_alu instid0(SALU_CYCLE_1) | instskip(NEXT) | instid1(SALU_CYCLE_1)
	s_xor_b64 s[12:13], s[12:13], s[4:5]
	v_cvt_f32_u32_e32 v1, s12
	v_cvt_f32_u32_e32 v2, s13
	s_sub_u32 s2, 0, s12
	s_subb_u32 s5, 0, s13
	s_delay_alu instid0(VALU_DEP_1) | instskip(NEXT) | instid1(VALU_DEP_1)
	v_fmac_f32_e32 v1, 0x4f800000, v2
	v_rcp_f32_e32 v1, v1
	s_waitcnt_depctr 0xfff
	v_mul_f32_e32 v1, 0x5f7ffffc, v1
	s_delay_alu instid0(VALU_DEP_1) | instskip(NEXT) | instid1(VALU_DEP_1)
	v_mul_f32_e32 v2, 0x2f800000, v1
	v_trunc_f32_e32 v2, v2
	s_delay_alu instid0(VALU_DEP_1) | instskip(SKIP_1) | instid1(VALU_DEP_2)
	v_fmac_f32_e32 v1, 0xcf800000, v2
	v_cvt_u32_f32_e32 v2, v2
	v_cvt_u32_f32_e32 v1, v1
	s_delay_alu instid0(VALU_DEP_2) | instskip(NEXT) | instid1(VALU_DEP_2)
	v_mul_lo_u32 v7, s2, v2
	v_mul_hi_u32 v11, s2, v1
	v_mul_lo_u32 v12, s5, v1
	s_delay_alu instid0(VALU_DEP_2) | instskip(SKIP_1) | instid1(VALU_DEP_2)
	v_add_nc_u32_e32 v7, v11, v7
	v_mul_lo_u32 v11, s2, v1
	v_add_nc_u32_e32 v7, v7, v12
	s_delay_alu instid0(VALU_DEP_2) | instskip(NEXT) | instid1(VALU_DEP_2)
	v_mul_hi_u32 v12, v1, v11
	v_mul_lo_u32 v13, v1, v7
	v_mul_hi_u32 v14, v1, v7
	v_mul_hi_u32 v22, v2, v11
	v_mul_lo_u32 v11, v2, v11
	v_mul_hi_u32 v23, v2, v7
	v_mul_lo_u32 v7, v2, v7
	v_add_co_u32 v12, vcc_lo, v12, v13
	v_add_co_ci_u32_e32 v13, vcc_lo, 0, v14, vcc_lo
	s_delay_alu instid0(VALU_DEP_2) | instskip(NEXT) | instid1(VALU_DEP_2)
	v_add_co_u32 v11, vcc_lo, v12, v11
	v_add_co_ci_u32_e32 v11, vcc_lo, v13, v22, vcc_lo
	v_add_co_ci_u32_e32 v12, vcc_lo, 0, v23, vcc_lo
	v_ashrrev_i32_e32 v22, 31, v10
	s_delay_alu instid0(VALU_DEP_3) | instskip(NEXT) | instid1(VALU_DEP_3)
	v_add_co_u32 v7, vcc_lo, v11, v7
	v_add_co_ci_u32_e32 v11, vcc_lo, 0, v12, vcc_lo
	s_delay_alu instid0(VALU_DEP_2) | instskip(NEXT) | instid1(VALU_DEP_2)
	v_add_co_u32 v1, vcc_lo, v1, v7
	v_add_co_ci_u32_e32 v2, vcc_lo, v2, v11, vcc_lo
	s_delay_alu instid0(VALU_DEP_2) | instskip(SKIP_1) | instid1(VALU_DEP_3)
	v_mul_hi_u32 v7, s2, v1
	v_mul_lo_u32 v12, s5, v1
	v_mul_lo_u32 v11, s2, v2
	s_delay_alu instid0(VALU_DEP_1) | instskip(SKIP_1) | instid1(VALU_DEP_2)
	v_add_nc_u32_e32 v7, v7, v11
	v_mul_lo_u32 v11, s2, v1
	v_add_nc_u32_e32 v7, v7, v12
	s_delay_alu instid0(VALU_DEP_2) | instskip(NEXT) | instid1(VALU_DEP_2)
	v_mul_hi_u32 v12, v1, v11
	v_mul_lo_u32 v13, v1, v7
	v_mul_hi_u32 v14, v1, v7
	v_mul_hi_u32 v23, v2, v11
	v_mul_lo_u32 v11, v2, v11
	v_mul_hi_u32 v24, v2, v7
	v_mul_lo_u32 v7, v2, v7
	v_add_co_u32 v12, vcc_lo, v12, v13
	v_add_co_ci_u32_e32 v13, vcc_lo, 0, v14, vcc_lo
	s_delay_alu instid0(VALU_DEP_2) | instskip(NEXT) | instid1(VALU_DEP_2)
	v_add_co_u32 v11, vcc_lo, v12, v11
	v_add_co_ci_u32_e32 v11, vcc_lo, v13, v23, vcc_lo
	v_add_co_ci_u32_e32 v12, vcc_lo, 0, v24, vcc_lo
	v_add_co_u32 v9, vcc_lo, v9, v22
	v_add_co_ci_u32_e32 v10, vcc_lo, v10, v22, vcc_lo
	s_delay_alu instid0(VALU_DEP_4) | instskip(NEXT) | instid1(VALU_DEP_4)
	v_add_co_u32 v7, vcc_lo, v11, v7
	v_add_co_ci_u32_e32 v11, vcc_lo, 0, v12, vcc_lo
	s_delay_alu instid0(VALU_DEP_4) | instskip(NEXT) | instid1(VALU_DEP_3)
	v_xor_b32_e32 v13, v9, v22
	v_add_co_u32 v7, vcc_lo, v1, v7
	s_delay_alu instid0(VALU_DEP_3) | instskip(SKIP_1) | instid1(VALU_DEP_3)
	v_add_co_ci_u32_e32 v14, vcc_lo, v2, v11, vcc_lo
	v_xor_b32_e32 v23, v10, v22
	v_mul_hi_u32 v24, v13, v7
	s_delay_alu instid0(VALU_DEP_3) | instskip(NEXT) | instid1(VALU_DEP_3)
	v_mad_u64_u32 v[1:2], null, v13, v14, 0
	v_mad_u64_u32 v[9:10], null, v23, v7, 0
	;; [unrolled: 1-line block ×3, first 2 shown]
	s_delay_alu instid0(VALU_DEP_3) | instskip(NEXT) | instid1(VALU_DEP_4)
	v_add_co_u32 v1, vcc_lo, v24, v1
	v_add_co_ci_u32_e32 v2, vcc_lo, 0, v2, vcc_lo
	s_delay_alu instid0(VALU_DEP_2) | instskip(NEXT) | instid1(VALU_DEP_2)
	v_add_co_u32 v1, vcc_lo, v1, v9
	v_add_co_ci_u32_e32 v1, vcc_lo, v2, v10, vcc_lo
	v_add_co_ci_u32_e32 v2, vcc_lo, 0, v12, vcc_lo
	s_delay_alu instid0(VALU_DEP_2) | instskip(NEXT) | instid1(VALU_DEP_2)
	v_add_co_u32 v7, vcc_lo, v1, v11
	v_add_co_ci_u32_e32 v9, vcc_lo, 0, v2, vcc_lo
	s_delay_alu instid0(VALU_DEP_2) | instskip(SKIP_1) | instid1(VALU_DEP_3)
	v_mul_lo_u32 v10, s13, v7
	v_mad_u64_u32 v[1:2], null, s12, v7, 0
	v_mul_lo_u32 v9, s12, v9
	s_delay_alu instid0(VALU_DEP_2) | instskip(NEXT) | instid1(VALU_DEP_2)
	v_sub_co_u32 v1, vcc_lo, v13, v1
	v_add3_u32 v2, v2, v9, v10
	v_add_co_u32 v10, s2, v7, 2
	s_delay_alu instid0(VALU_DEP_2) | instskip(NEXT) | instid1(VALU_DEP_1)
	v_sub_nc_u32_e32 v9, v23, v2
	v_subrev_co_ci_u32_e64 v9, s2, s13, v9, vcc_lo
	v_sub_co_u32 v11, s2, v1, s12
	v_sub_co_ci_u32_e32 v2, vcc_lo, v23, v2, vcc_lo
	s_delay_alu instid0(VALU_DEP_3) | instskip(NEXT) | instid1(VALU_DEP_3)
	v_subrev_co_ci_u32_e64 v9, s2, 0, v9, s2
	v_cmp_le_u32_e32 vcc_lo, s12, v11
	v_cndmask_b32_e64 v11, 0, -1, vcc_lo
	s_delay_alu instid0(VALU_DEP_3)
	v_cmp_le_u32_e32 vcc_lo, s13, v9
	v_cndmask_b32_e64 v12, 0, -1, vcc_lo
	v_cmp_le_u32_e32 vcc_lo, s12, v1
	v_cndmask_b32_e64 v1, 0, -1, vcc_lo
	v_cmp_le_u32_e32 vcc_lo, s13, v2
	v_cndmask_b32_e64 v13, 0, -1, vcc_lo
	v_cmp_eq_u32_e32 vcc_lo, s13, v9
	v_cndmask_b32_e32 v9, v12, v11, vcc_lo
	v_add_co_u32 v11, vcc_lo, v7, 1
	v_cmp_eq_u32_e32 vcc_lo, s13, v2
	v_cndmask_b32_e32 v1, v13, v1, vcc_lo
	s_delay_alu instid0(VALU_DEP_4) | instskip(NEXT) | instid1(VALU_DEP_4)
	v_cmp_ne_u32_e32 vcc_lo, 0, v9
	v_cndmask_b32_e32 v2, v11, v10, vcc_lo
	s_delay_alu instid0(VALU_DEP_3) | instskip(NEXT) | instid1(VALU_DEP_2)
	v_cmp_ne_u32_e32 vcc_lo, 0, v1
                                        ; implicit-def: $vgpr9_vgpr10
	v_cndmask_b32_e32 v1, v7, v2, vcc_lo
	v_xor_b32_e32 v2, s4, v22
	s_delay_alu instid0(VALU_DEP_1) | instskip(NEXT) | instid1(VALU_DEP_1)
	v_xor_b32_e32 v1, v1, v2
	v_sub_co_u32 v1, vcc_lo, v1, v2
.LBB4_18:                               ;   in Loop: Header=BB4_12 Depth=1
	s_and_not1_saveexec_b32 s2, s3
; %bb.19:                               ;   in Loop: Header=BB4_12 Depth=1
	v_mul_hi_u32 v1, v9, v21
	s_delay_alu instid0(VALU_DEP_1) | instskip(SKIP_1) | instid1(VALU_DEP_2)
	v_mul_lo_u32 v2, v1, s16
	v_add_nc_u32_e32 v7, 1, v1
	v_sub_nc_u32_e32 v2, v9, v2
	s_delay_alu instid0(VALU_DEP_1) | instskip(SKIP_1) | instid1(VALU_DEP_2)
	v_subrev_nc_u32_e32 v9, s16, v2
	v_cmp_le_u32_e32 vcc_lo, s16, v2
	v_dual_cndmask_b32 v2, v2, v9 :: v_dual_cndmask_b32 v1, v1, v7
	s_delay_alu instid0(VALU_DEP_1) | instskip(NEXT) | instid1(VALU_DEP_2)
	v_cmp_le_u32_e32 vcc_lo, s16, v2
	v_add_nc_u32_e32 v7, 1, v1
	s_delay_alu instid0(VALU_DEP_1)
	v_cndmask_b32_e32 v1, v1, v7, vcc_lo
; %bb.20:                               ;   in Loop: Header=BB4_12 Depth=1
	s_or_b32 exec_lo, exec_lo, s2
	v_add_co_u32 v7, vcc_lo, v4, 1
	v_add_co_ci_u32_e32 v2, vcc_lo, 0, v3, vcc_lo
	s_delay_alu instid0(VALU_DEP_2) | instskip(NEXT) | instid1(VALU_DEP_2)
	v_mul_lo_u32 v9, v7, s25
	v_mul_lo_u32 v10, v2, s23
	v_mad_u64_u32 v[2:3], null, v7, s23, -1
	s_delay_alu instid0(VALU_DEP_1) | instskip(SKIP_1) | instid1(VALU_DEP_2)
	v_add3_u32 v3, v10, v3, v9
	v_mov_b32_e32 v9, v8
	v_or_b32_e32 v10, s7, v3
	s_delay_alu instid0(VALU_DEP_1) | instskip(SKIP_1) | instid1(SALU_CYCLE_1)
	v_cmp_ne_u64_e32 vcc_lo, 0, v[9:10]
                                        ; implicit-def: $vgpr9_vgpr10
	s_and_saveexec_b32 s2, vcc_lo
	s_xor_b32 s3, exec_lo, s2
	s_cbranch_execnz .LBB4_23
; %bb.21:                               ;   in Loop: Header=BB4_12 Depth=1
	s_and_not1_saveexec_b32 s2, s3
	s_cbranch_execnz .LBB4_24
.LBB4_22:                               ;   in Loop: Header=BB4_12 Depth=1
	s_or_b32 exec_lo, exec_lo, s2
	s_and_saveexec_b32 s28, s0
	s_cbranch_execz .LBB4_11
	s_branch .LBB4_25
.LBB4_23:                               ;   in Loop: Header=BB4_12 Depth=1
	s_add_u32 s12, s16, s7
	s_mov_b32 s4, s7
	s_mov_b32 s5, s7
	s_addc_u32 s13, s7, s7
	s_delay_alu instid0(SALU_CYCLE_1) | instskip(NEXT) | instid1(SALU_CYCLE_1)
	s_xor_b64 s[12:13], s[12:13], s[4:5]
	v_cvt_f32_u32_e32 v7, s12
	v_cvt_f32_u32_e32 v9, s13
	s_sub_u32 s2, 0, s12
	s_subb_u32 s5, 0, s13
	s_delay_alu instid0(VALU_DEP_1) | instskip(NEXT) | instid1(VALU_DEP_1)
	v_fmac_f32_e32 v7, 0x4f800000, v9
	v_rcp_f32_e32 v7, v7
	s_waitcnt_depctr 0xfff
	v_mul_f32_e32 v7, 0x5f7ffffc, v7
	s_delay_alu instid0(VALU_DEP_1) | instskip(NEXT) | instid1(VALU_DEP_1)
	v_mul_f32_e32 v9, 0x2f800000, v7
	v_trunc_f32_e32 v9, v9
	s_delay_alu instid0(VALU_DEP_1) | instskip(SKIP_1) | instid1(VALU_DEP_2)
	v_fmac_f32_e32 v7, 0xcf800000, v9
	v_cvt_u32_f32_e32 v9, v9
	v_cvt_u32_f32_e32 v7, v7
	s_delay_alu instid0(VALU_DEP_2) | instskip(NEXT) | instid1(VALU_DEP_2)
	v_mul_lo_u32 v10, s2, v9
	v_mul_hi_u32 v11, s2, v7
	v_mul_lo_u32 v12, s5, v7
	s_delay_alu instid0(VALU_DEP_2) | instskip(SKIP_1) | instid1(VALU_DEP_2)
	v_add_nc_u32_e32 v10, v11, v10
	v_mul_lo_u32 v11, s2, v7
	v_add_nc_u32_e32 v10, v10, v12
	s_delay_alu instid0(VALU_DEP_2) | instskip(NEXT) | instid1(VALU_DEP_2)
	v_mul_hi_u32 v12, v7, v11
	v_mul_lo_u32 v13, v7, v10
	v_mul_hi_u32 v14, v7, v10
	v_mul_hi_u32 v22, v9, v11
	v_mul_lo_u32 v11, v9, v11
	v_mul_hi_u32 v23, v9, v10
	v_mul_lo_u32 v10, v9, v10
	v_add_co_u32 v12, vcc_lo, v12, v13
	v_add_co_ci_u32_e32 v13, vcc_lo, 0, v14, vcc_lo
	s_delay_alu instid0(VALU_DEP_2) | instskip(NEXT) | instid1(VALU_DEP_2)
	v_add_co_u32 v11, vcc_lo, v12, v11
	v_add_co_ci_u32_e32 v11, vcc_lo, v13, v22, vcc_lo
	v_add_co_ci_u32_e32 v12, vcc_lo, 0, v23, vcc_lo
	v_ashrrev_i32_e32 v22, 31, v3
	s_delay_alu instid0(VALU_DEP_3) | instskip(NEXT) | instid1(VALU_DEP_3)
	v_add_co_u32 v10, vcc_lo, v11, v10
	v_add_co_ci_u32_e32 v11, vcc_lo, 0, v12, vcc_lo
	s_delay_alu instid0(VALU_DEP_2) | instskip(NEXT) | instid1(VALU_DEP_2)
	v_add_co_u32 v7, vcc_lo, v7, v10
	v_add_co_ci_u32_e32 v9, vcc_lo, v9, v11, vcc_lo
	s_delay_alu instid0(VALU_DEP_2) | instskip(SKIP_1) | instid1(VALU_DEP_3)
	v_mul_hi_u32 v10, s2, v7
	v_mul_lo_u32 v12, s5, v7
	v_mul_lo_u32 v11, s2, v9
	s_delay_alu instid0(VALU_DEP_1) | instskip(SKIP_1) | instid1(VALU_DEP_2)
	v_add_nc_u32_e32 v10, v10, v11
	v_mul_lo_u32 v11, s2, v7
	v_add_nc_u32_e32 v10, v10, v12
	s_delay_alu instid0(VALU_DEP_2) | instskip(NEXT) | instid1(VALU_DEP_2)
	v_mul_hi_u32 v12, v7, v11
	v_mul_lo_u32 v13, v7, v10
	v_mul_hi_u32 v14, v7, v10
	v_mul_hi_u32 v23, v9, v11
	v_mul_lo_u32 v11, v9, v11
	v_mul_hi_u32 v24, v9, v10
	v_mul_lo_u32 v10, v9, v10
	v_add_co_u32 v12, vcc_lo, v12, v13
	v_add_co_ci_u32_e32 v13, vcc_lo, 0, v14, vcc_lo
	s_delay_alu instid0(VALU_DEP_2) | instskip(NEXT) | instid1(VALU_DEP_2)
	v_add_co_u32 v11, vcc_lo, v12, v11
	v_add_co_ci_u32_e32 v11, vcc_lo, v13, v23, vcc_lo
	v_add_co_ci_u32_e32 v12, vcc_lo, 0, v24, vcc_lo
	v_add_co_u32 v2, vcc_lo, v2, v22
	v_add_co_ci_u32_e32 v3, vcc_lo, v3, v22, vcc_lo
	s_delay_alu instid0(VALU_DEP_4) | instskip(NEXT) | instid1(VALU_DEP_4)
	v_add_co_u32 v10, vcc_lo, v11, v10
	v_add_co_ci_u32_e32 v11, vcc_lo, 0, v12, vcc_lo
	s_delay_alu instid0(VALU_DEP_4) | instskip(NEXT) | instid1(VALU_DEP_3)
	v_xor_b32_e32 v13, v2, v22
	v_add_co_u32 v7, vcc_lo, v7, v10
	s_delay_alu instid0(VALU_DEP_3) | instskip(SKIP_1) | instid1(VALU_DEP_3)
	v_add_co_ci_u32_e32 v14, vcc_lo, v9, v11, vcc_lo
	v_xor_b32_e32 v23, v3, v22
	v_mul_hi_u32 v24, v13, v7
	s_delay_alu instid0(VALU_DEP_3) | instskip(NEXT) | instid1(VALU_DEP_3)
	v_mad_u64_u32 v[2:3], null, v13, v14, 0
	v_mad_u64_u32 v[9:10], null, v23, v7, 0
	v_mad_u64_u32 v[11:12], null, v23, v14, 0
	s_delay_alu instid0(VALU_DEP_3) | instskip(NEXT) | instid1(VALU_DEP_4)
	v_add_co_u32 v2, vcc_lo, v24, v2
	v_add_co_ci_u32_e32 v3, vcc_lo, 0, v3, vcc_lo
	s_delay_alu instid0(VALU_DEP_2) | instskip(NEXT) | instid1(VALU_DEP_2)
	v_add_co_u32 v2, vcc_lo, v2, v9
	v_add_co_ci_u32_e32 v2, vcc_lo, v3, v10, vcc_lo
	v_add_co_ci_u32_e32 v3, vcc_lo, 0, v12, vcc_lo
	s_delay_alu instid0(VALU_DEP_2) | instskip(NEXT) | instid1(VALU_DEP_2)
	v_add_co_u32 v7, vcc_lo, v2, v11
	v_add_co_ci_u32_e32 v9, vcc_lo, 0, v3, vcc_lo
	s_delay_alu instid0(VALU_DEP_2) | instskip(SKIP_1) | instid1(VALU_DEP_3)
	v_mul_lo_u32 v10, s13, v7
	v_mad_u64_u32 v[2:3], null, s12, v7, 0
	v_mul_lo_u32 v9, s12, v9
	s_delay_alu instid0(VALU_DEP_2) | instskip(NEXT) | instid1(VALU_DEP_2)
	v_sub_co_u32 v2, vcc_lo, v13, v2
	v_add3_u32 v3, v3, v9, v10
	v_add_co_u32 v10, s2, v7, 2
	s_delay_alu instid0(VALU_DEP_2) | instskip(NEXT) | instid1(VALU_DEP_1)
	v_sub_nc_u32_e32 v9, v23, v3
	v_subrev_co_ci_u32_e64 v9, s2, s13, v9, vcc_lo
	v_sub_co_u32 v11, s2, v2, s12
	v_sub_co_ci_u32_e32 v3, vcc_lo, v23, v3, vcc_lo
	s_delay_alu instid0(VALU_DEP_3) | instskip(NEXT) | instid1(VALU_DEP_3)
	v_subrev_co_ci_u32_e64 v9, s2, 0, v9, s2
	v_cmp_le_u32_e32 vcc_lo, s12, v11
	v_cndmask_b32_e64 v11, 0, -1, vcc_lo
	s_delay_alu instid0(VALU_DEP_3)
	v_cmp_le_u32_e32 vcc_lo, s13, v9
	v_cndmask_b32_e64 v12, 0, -1, vcc_lo
	v_cmp_le_u32_e32 vcc_lo, s12, v2
	v_cndmask_b32_e64 v2, 0, -1, vcc_lo
	;; [unrolled: 2-line block ×3, first 2 shown]
	v_cmp_eq_u32_e32 vcc_lo, s13, v9
	v_cndmask_b32_e32 v9, v12, v11, vcc_lo
	v_add_co_u32 v11, vcc_lo, v7, 1
	v_cmp_eq_u32_e32 vcc_lo, s13, v3
	v_cndmask_b32_e32 v2, v13, v2, vcc_lo
	s_delay_alu instid0(VALU_DEP_4) | instskip(NEXT) | instid1(VALU_DEP_4)
	v_cmp_ne_u32_e32 vcc_lo, 0, v9
	v_cndmask_b32_e32 v3, v11, v10, vcc_lo
	s_delay_alu instid0(VALU_DEP_3) | instskip(NEXT) | instid1(VALU_DEP_2)
	v_cmp_ne_u32_e32 vcc_lo, 0, v2
	v_cndmask_b32_e32 v2, v7, v3, vcc_lo
	v_xor_b32_e32 v3, s4, v22
	s_delay_alu instid0(VALU_DEP_1) | instskip(NEXT) | instid1(VALU_DEP_1)
	v_xor_b32_e32 v2, v2, v3
	v_sub_co_u32 v9, vcc_lo, v2, v3
                                        ; implicit-def: $vgpr2_vgpr3
	s_and_not1_saveexec_b32 s2, s3
	s_cbranch_execz .LBB4_22
.LBB4_24:                               ;   in Loop: Header=BB4_12 Depth=1
	v_mul_hi_u32 v3, v2, v21
	s_delay_alu instid0(VALU_DEP_1) | instskip(NEXT) | instid1(VALU_DEP_1)
	v_mul_lo_u32 v7, v3, s16
	v_sub_nc_u32_e32 v2, v2, v7
	s_delay_alu instid0(VALU_DEP_1) | instskip(SKIP_1) | instid1(VALU_DEP_2)
	v_subrev_nc_u32_e32 v9, s16, v2
	v_cmp_le_u32_e32 vcc_lo, s16, v2
	v_dual_cndmask_b32 v2, v2, v9 :: v_dual_add_nc_u32 v7, 1, v3
	s_delay_alu instid0(VALU_DEP_1) | instskip(NEXT) | instid1(VALU_DEP_2)
	v_cndmask_b32_e32 v3, v3, v7, vcc_lo
	v_cmp_le_u32_e32 vcc_lo, s16, v2
	s_delay_alu instid0(VALU_DEP_2) | instskip(NEXT) | instid1(VALU_DEP_1)
	v_add_nc_u32_e32 v7, 1, v3
	v_cndmask_b32_e32 v9, v3, v7, vcc_lo
	s_or_b32 exec_lo, exec_lo, s2
	s_and_saveexec_b32 s28, s0
	s_cbranch_execz .LBB4_11
.LBB4_25:                               ;   in Loop: Header=BB4_12 Depth=1
	v_mad_u64_u32 v[2:3], null, v0, s23, v[1:2]
	s_mov_b32 s29, 0
	v_mov_b32_e32 v7, v15
	s_delay_alu instid0(VALU_DEP_2) | instskip(NEXT) | instid1(VALU_DEP_1)
	v_sub_nc_u32_e32 v0, v9, v2
	v_add_nc_u32_e32 v22, 1, v0
	v_mul_lo_u32 v0, v2, s6
	v_mul_lo_u32 v2, v4, s9
	s_delay_alu instid0(VALU_DEP_3) | instskip(SKIP_1) | instid1(VALU_DEP_4)
	v_cvt_f64_i32_e32 v[9:10], v22
	v_cmp_lt_i32_e64 s2, 0, v22
	v_ashrrev_i32_e32 v1, 31, v0
	s_delay_alu instid0(VALU_DEP_4) | instskip(NEXT) | instid1(VALU_DEP_2)
	v_ashrrev_i32_e32 v3, 31, v2
	v_lshlrev_b64 v[0:1], 3, v[0:1]
	s_delay_alu instid0(VALU_DEP_2) | instskip(NEXT) | instid1(VALU_DEP_2)
	v_lshlrev_b64 v[2:3], 3, v[2:3]
	v_add_co_u32 v23, vcc_lo, v17, v0
	s_delay_alu instid0(VALU_DEP_3) | instskip(NEXT) | instid1(VALU_DEP_3)
	v_add_co_ci_u32_e32 v24, vcc_lo, v18, v1, vcc_lo
	v_add_co_u32 v25, vcc_lo, s14, v2
	s_delay_alu instid0(VALU_DEP_4)
	v_add_co_ci_u32_e32 v26, vcc_lo, s15, v3, vcc_lo
	s_branch .LBB4_27
.LBB4_26:                               ;   in Loop: Header=BB4_27 Depth=2
	v_add_nc_u32_e32 v7, s24, v7
	s_delay_alu instid0(VALU_DEP_1) | instskip(SKIP_1) | instid1(SALU_CYCLE_1)
	v_cmp_le_i32_e32 vcc_lo, s9, v7
	s_or_b32 s29, vcc_lo, s29
	s_and_not1_b32 exec_lo, exec_lo, s29
	s_cbranch_execz .LBB4_11
.LBB4_27:                               ;   Parent Loop BB4_12 Depth=1
                                        ; =>  This Loop Header: Depth=2
                                        ;       Child Loop BB4_38 Depth 3
                                        ;         Child Loop BB4_41 Depth 4
                                        ;           Child Loop BB4_43 Depth 5
                                        ;             Child Loop BB4_44 Depth 6
	v_mul_hi_u32 v0, v7, v19
	s_delay_alu instid0(VALU_DEP_1) | instskip(NEXT) | instid1(VALU_DEP_1)
	v_mul_lo_u32 v1, v0, s20
	v_sub_nc_u32_e32 v1, v7, v1
	s_delay_alu instid0(VALU_DEP_1) | instskip(SKIP_1) | instid1(VALU_DEP_2)
	v_subrev_nc_u32_e32 v3, s20, v1
	v_cmp_le_u32_e32 vcc_lo, s20, v1
	v_dual_cndmask_b32 v1, v1, v3 :: v_dual_add_nc_u32 v2, 1, v0
	s_delay_alu instid0(VALU_DEP_1) | instskip(NEXT) | instid1(VALU_DEP_2)
	v_cndmask_b32_e32 v0, v0, v2, vcc_lo
	v_cmp_le_u32_e32 vcc_lo, s20, v1
	s_delay_alu instid0(VALU_DEP_2) | instskip(NEXT) | instid1(VALU_DEP_1)
	v_add_nc_u32_e32 v2, 1, v0
	v_cndmask_b32_e32 v0, v0, v2, vcc_lo
	s_delay_alu instid0(VALU_DEP_1) | instskip(NEXT) | instid1(VALU_DEP_1)
	v_xor_b32_e32 v0, s17, v0
	v_subrev_nc_u32_e32 v13, s17, v0
	s_delay_alu instid0(VALU_DEP_1) | instskip(NEXT) | instid1(VALU_DEP_1)
	v_mad_i64_i32 v[0:1], null, v13, s18, 0
	v_sub_co_u32 v0, vcc_lo, v7, v0
	s_delay_alu instid0(VALU_DEP_2) | instskip(NEXT) | instid1(VALU_DEP_2)
	v_sub_co_ci_u32_e32 v1, vcc_lo, 0, v1, vcc_lo
	v_mul_lo_u32 v11, v0, s26
	v_mad_u64_u32 v[2:3], null, v0, s6, 0
	s_delay_alu instid0(VALU_DEP_3) | instskip(SKIP_1) | instid1(VALU_DEP_2)
	v_mul_lo_u32 v1, v1, s6
	v_mov_b32_e32 v0, v8
	v_add3_u32 v3, v3, v11, v1
	s_delay_alu instid0(VALU_DEP_1) | instskip(NEXT) | instid1(VALU_DEP_1)
	v_or_b32_e32 v1, s17, v3
	v_cmp_ne_u64_e32 vcc_lo, 0, v[0:1]
                                        ; implicit-def: $vgpr0_vgpr1
	s_and_saveexec_b32 s3, vcc_lo
	s_delay_alu instid0(SALU_CYCLE_1)
	s_xor_b32 s30, exec_lo, s3
	s_cbranch_execz .LBB4_29
; %bb.28:                               ;   in Loop: Header=BB4_27 Depth=2
	s_add_u32 s12, s18, s17
	s_mov_b32 s4, s17
	s_mov_b32 s5, s17
	s_addc_u32 s13, s17, s17
	s_delay_alu instid0(SALU_CYCLE_1) | instskip(NEXT) | instid1(SALU_CYCLE_1)
	s_xor_b64 s[12:13], s[12:13], s[4:5]
	v_cvt_f32_u32_e32 v0, s12
	v_cvt_f32_u32_e32 v1, s13
	s_sub_u32 s3, 0, s12
	s_subb_u32 s31, 0, s13
	s_delay_alu instid0(VALU_DEP_1) | instskip(NEXT) | instid1(VALU_DEP_1)
	v_fmac_f32_e32 v0, 0x4f800000, v1
	v_rcp_f32_e32 v0, v0
	s_waitcnt_depctr 0xfff
	v_mul_f32_e32 v0, 0x5f7ffffc, v0
	s_delay_alu instid0(VALU_DEP_1) | instskip(NEXT) | instid1(VALU_DEP_1)
	v_mul_f32_e32 v1, 0x2f800000, v0
	v_trunc_f32_e32 v1, v1
	s_delay_alu instid0(VALU_DEP_1) | instskip(SKIP_1) | instid1(VALU_DEP_2)
	v_fmac_f32_e32 v0, 0xcf800000, v1
	v_cvt_u32_f32_e32 v1, v1
	v_cvt_u32_f32_e32 v0, v0
	s_delay_alu instid0(VALU_DEP_2) | instskip(NEXT) | instid1(VALU_DEP_2)
	v_mul_lo_u32 v11, s3, v1
	v_mul_hi_u32 v12, s3, v0
	v_mul_lo_u32 v14, s31, v0
	s_delay_alu instid0(VALU_DEP_2) | instskip(SKIP_1) | instid1(VALU_DEP_2)
	v_add_nc_u32_e32 v11, v12, v11
	v_mul_lo_u32 v12, s3, v0
	v_add_nc_u32_e32 v11, v11, v14
	s_delay_alu instid0(VALU_DEP_2) | instskip(NEXT) | instid1(VALU_DEP_2)
	v_mul_hi_u32 v14, v0, v12
	v_mul_lo_u32 v27, v0, v11
	v_mul_hi_u32 v28, v0, v11
	v_mul_hi_u32 v29, v1, v12
	v_mul_lo_u32 v12, v1, v12
	v_mul_hi_u32 v30, v1, v11
	v_mul_lo_u32 v11, v1, v11
	v_add_co_u32 v14, vcc_lo, v14, v27
	v_add_co_ci_u32_e32 v27, vcc_lo, 0, v28, vcc_lo
	s_delay_alu instid0(VALU_DEP_2) | instskip(NEXT) | instid1(VALU_DEP_2)
	v_add_co_u32 v12, vcc_lo, v14, v12
	v_add_co_ci_u32_e32 v12, vcc_lo, v27, v29, vcc_lo
	v_add_co_ci_u32_e32 v14, vcc_lo, 0, v30, vcc_lo
	v_ashrrev_i32_e32 v29, 31, v3
	s_delay_alu instid0(VALU_DEP_3) | instskip(NEXT) | instid1(VALU_DEP_3)
	v_add_co_u32 v11, vcc_lo, v12, v11
	v_add_co_ci_u32_e32 v12, vcc_lo, 0, v14, vcc_lo
	s_delay_alu instid0(VALU_DEP_2) | instskip(NEXT) | instid1(VALU_DEP_2)
	v_add_co_u32 v0, vcc_lo, v0, v11
	v_add_co_ci_u32_e32 v1, vcc_lo, v1, v12, vcc_lo
	s_delay_alu instid0(VALU_DEP_2) | instskip(SKIP_1) | instid1(VALU_DEP_3)
	v_mul_hi_u32 v11, s3, v0
	v_mul_lo_u32 v14, s31, v0
	v_mul_lo_u32 v12, s3, v1
	s_delay_alu instid0(VALU_DEP_1) | instskip(SKIP_1) | instid1(VALU_DEP_2)
	v_add_nc_u32_e32 v11, v11, v12
	v_mul_lo_u32 v12, s3, v0
	v_add_nc_u32_e32 v11, v11, v14
	s_delay_alu instid0(VALU_DEP_2) | instskip(NEXT) | instid1(VALU_DEP_2)
	v_mul_hi_u32 v14, v0, v12
	v_mul_lo_u32 v27, v0, v11
	v_mul_hi_u32 v28, v0, v11
	v_mul_hi_u32 v30, v1, v12
	v_mul_lo_u32 v12, v1, v12
	v_mul_hi_u32 v31, v1, v11
	v_mul_lo_u32 v11, v1, v11
	v_add_co_u32 v14, vcc_lo, v14, v27
	v_add_co_ci_u32_e32 v27, vcc_lo, 0, v28, vcc_lo
	s_delay_alu instid0(VALU_DEP_2) | instskip(NEXT) | instid1(VALU_DEP_2)
	v_add_co_u32 v12, vcc_lo, v14, v12
	v_add_co_ci_u32_e32 v12, vcc_lo, v27, v30, vcc_lo
	v_add_co_ci_u32_e32 v14, vcc_lo, 0, v31, vcc_lo
	v_add_co_u32 v2, vcc_lo, v2, v29
	v_add_co_ci_u32_e32 v3, vcc_lo, v3, v29, vcc_lo
	s_delay_alu instid0(VALU_DEP_4) | instskip(NEXT) | instid1(VALU_DEP_4)
	v_add_co_u32 v11, vcc_lo, v12, v11
	v_add_co_ci_u32_e32 v12, vcc_lo, 0, v14, vcc_lo
	s_delay_alu instid0(VALU_DEP_4) | instskip(NEXT) | instid1(VALU_DEP_3)
	v_xor_b32_e32 v14, v2, v29
	v_add_co_u32 v11, vcc_lo, v0, v11
	s_delay_alu instid0(VALU_DEP_3) | instskip(SKIP_1) | instid1(VALU_DEP_3)
	v_add_co_ci_u32_e32 v27, vcc_lo, v1, v12, vcc_lo
	v_xor_b32_e32 v28, v3, v29
	v_mul_hi_u32 v30, v14, v11
	s_delay_alu instid0(VALU_DEP_3) | instskip(NEXT) | instid1(VALU_DEP_3)
	v_mad_u64_u32 v[0:1], null, v14, v27, 0
	v_mad_u64_u32 v[2:3], null, v28, v11, 0
	;; [unrolled: 1-line block ×3, first 2 shown]
	s_delay_alu instid0(VALU_DEP_3) | instskip(NEXT) | instid1(VALU_DEP_4)
	v_add_co_u32 v0, vcc_lo, v30, v0
	v_add_co_ci_u32_e32 v1, vcc_lo, 0, v1, vcc_lo
	s_delay_alu instid0(VALU_DEP_2) | instskip(NEXT) | instid1(VALU_DEP_2)
	v_add_co_u32 v0, vcc_lo, v0, v2
	v_add_co_ci_u32_e32 v0, vcc_lo, v1, v3, vcc_lo
	v_add_co_ci_u32_e32 v1, vcc_lo, 0, v12, vcc_lo
	s_delay_alu instid0(VALU_DEP_2) | instskip(NEXT) | instid1(VALU_DEP_2)
	v_add_co_u32 v2, vcc_lo, v0, v11
	v_add_co_ci_u32_e32 v3, vcc_lo, 0, v1, vcc_lo
	s_delay_alu instid0(VALU_DEP_2) | instskip(SKIP_1) | instid1(VALU_DEP_3)
	v_mul_lo_u32 v11, s13, v2
	v_mad_u64_u32 v[0:1], null, s12, v2, 0
	v_mul_lo_u32 v12, s12, v3
	s_delay_alu instid0(VALU_DEP_2) | instskip(NEXT) | instid1(VALU_DEP_2)
	v_sub_co_u32 v0, vcc_lo, v14, v0
	v_add3_u32 v1, v1, v12, v11
	s_delay_alu instid0(VALU_DEP_1) | instskip(NEXT) | instid1(VALU_DEP_1)
	v_sub_nc_u32_e32 v11, v28, v1
	v_subrev_co_ci_u32_e64 v11, s3, s13, v11, vcc_lo
	v_add_co_u32 v12, s3, v2, 2
	s_delay_alu instid0(VALU_DEP_1) | instskip(SKIP_3) | instid1(VALU_DEP_3)
	v_add_co_ci_u32_e64 v14, s3, 0, v3, s3
	v_sub_co_u32 v27, s3, v0, s12
	v_sub_co_ci_u32_e32 v1, vcc_lo, v28, v1, vcc_lo
	v_subrev_co_ci_u32_e64 v11, s3, 0, v11, s3
	v_cmp_le_u32_e32 vcc_lo, s12, v27
	s_delay_alu instid0(VALU_DEP_3) | instskip(SKIP_1) | instid1(VALU_DEP_4)
	v_cmp_eq_u32_e64 s3, s13, v1
	v_cndmask_b32_e64 v27, 0, -1, vcc_lo
	v_cmp_le_u32_e32 vcc_lo, s13, v11
	v_cndmask_b32_e64 v28, 0, -1, vcc_lo
	v_cmp_le_u32_e32 vcc_lo, s12, v0
	;; [unrolled: 2-line block ×3, first 2 shown]
	v_cndmask_b32_e64 v30, 0, -1, vcc_lo
	v_cmp_eq_u32_e32 vcc_lo, s13, v11
	s_delay_alu instid0(VALU_DEP_2) | instskip(SKIP_3) | instid1(VALU_DEP_3)
	v_cndmask_b32_e64 v0, v30, v0, s3
	v_cndmask_b32_e32 v11, v28, v27, vcc_lo
	v_add_co_u32 v27, vcc_lo, v2, 1
	v_add_co_ci_u32_e32 v28, vcc_lo, 0, v3, vcc_lo
	v_cmp_ne_u32_e32 vcc_lo, 0, v11
	s_delay_alu instid0(VALU_DEP_2) | instskip(NEXT) | instid1(VALU_DEP_4)
	v_cndmask_b32_e32 v1, v28, v14, vcc_lo
	v_cndmask_b32_e32 v11, v27, v12, vcc_lo
	v_cmp_ne_u32_e32 vcc_lo, 0, v0
	v_xor_b32_e32 v0, s4, v29
	s_delay_alu instid0(VALU_DEP_3) | instskip(SKIP_1) | instid1(VALU_DEP_2)
	v_dual_cndmask_b32 v2, v2, v11 :: v_dual_cndmask_b32 v1, v3, v1
	v_xor_b32_e32 v3, s5, v29
	v_xor_b32_e32 v2, v2, v0
	s_delay_alu instid0(VALU_DEP_2) | instskip(NEXT) | instid1(VALU_DEP_2)
	v_xor_b32_e32 v1, v1, v3
	v_sub_co_u32 v0, vcc_lo, v2, v0
	s_delay_alu instid0(VALU_DEP_2)
	v_sub_co_ci_u32_e32 v1, vcc_lo, v1, v3, vcc_lo
                                        ; implicit-def: $vgpr2_vgpr3
.LBB4_29:                               ;   in Loop: Header=BB4_27 Depth=2
	s_or_saveexec_b32 s3, s30
	v_cvt_f32_u32_e32 v14, s18
	s_xor_b32 exec_lo, exec_lo, s3
	s_cbranch_execz .LBB4_31
; %bb.30:                               ;   in Loop: Header=BB4_27 Depth=2
	s_delay_alu instid0(VALU_DEP_1) | instskip(SKIP_3) | instid1(VALU_DEP_1)
	v_rcp_iflag_f32_e32 v0, v14
	s_sub_i32 s4, 0, s18
	s_waitcnt_depctr 0xfff
	v_mul_f32_e32 v0, 0x4f7ffffe, v0
	v_cvt_u32_f32_e32 v0, v0
	s_delay_alu instid0(VALU_DEP_1) | instskip(NEXT) | instid1(VALU_DEP_1)
	v_mul_lo_u32 v1, s4, v0
	v_mul_hi_u32 v1, v0, v1
	s_delay_alu instid0(VALU_DEP_1) | instskip(NEXT) | instid1(VALU_DEP_1)
	v_add_nc_u32_e32 v0, v0, v1
	v_mul_hi_u32 v0, v2, v0
	s_delay_alu instid0(VALU_DEP_1) | instskip(NEXT) | instid1(VALU_DEP_1)
	v_mul_lo_u32 v1, v0, s18
	v_sub_nc_u32_e32 v1, v2, v1
	v_add_nc_u32_e32 v2, 1, v0
	s_delay_alu instid0(VALU_DEP_2) | instskip(SKIP_1) | instid1(VALU_DEP_2)
	v_subrev_nc_u32_e32 v3, s18, v1
	v_cmp_le_u32_e32 vcc_lo, s18, v1
	v_dual_cndmask_b32 v1, v1, v3 :: v_dual_cndmask_b32 v0, v0, v2
	s_delay_alu instid0(VALU_DEP_1) | instskip(NEXT) | instid1(VALU_DEP_2)
	v_cmp_le_u32_e32 vcc_lo, s18, v1
	v_dual_mov_b32 v1, v8 :: v_dual_add_nc_u32 v2, 1, v0
	s_delay_alu instid0(VALU_DEP_1)
	v_cndmask_b32_e32 v0, v0, v2, vcc_lo
.LBB4_31:                               ;   in Loop: Header=BB4_27 Depth=2
	s_or_b32 exec_lo, exec_lo, s3
	v_add_co_u32 v11, s3, v7, 1
	s_delay_alu instid0(VALU_DEP_1) | instskip(NEXT) | instid1(VALU_DEP_2)
	v_add_co_ci_u32_e64 v2, null, 0, 0, s3
	v_mul_lo_u32 v12, v11, s26
	s_delay_alu instid0(VALU_DEP_2) | instskip(SKIP_2) | instid1(VALU_DEP_2)
	v_mul_lo_u32 v27, v2, s6
	v_mad_u64_u32 v[2:3], null, v11, s6, -1
	v_mov_b32_e32 v11, v8
	v_add3_u32 v3, v27, v3, v12
	s_delay_alu instid0(VALU_DEP_1) | instskip(NEXT) | instid1(VALU_DEP_1)
	v_or_b32_e32 v12, s17, v3
	v_cmp_ne_u64_e32 vcc_lo, 0, v[11:12]
                                        ; implicit-def: $vgpr11_vgpr12
	s_and_saveexec_b32 s3, vcc_lo
	s_delay_alu instid0(SALU_CYCLE_1)
	s_xor_b32 s30, exec_lo, s3
	s_cbranch_execnz .LBB4_34
; %bb.32:                               ;   in Loop: Header=BB4_27 Depth=2
	s_and_not1_saveexec_b32 s3, s30
	s_cbranch_execnz .LBB4_35
.LBB4_33:                               ;   in Loop: Header=BB4_27 Depth=2
	s_or_b32 exec_lo, exec_lo, s3
	s_delay_alu instid0(SALU_CYCLE_1)
	s_and_not1_b32 vcc_lo, exec_lo, s1
	s_cbranch_vccnz .LBB4_26
	s_branch .LBB4_36
.LBB4_34:                               ;   in Loop: Header=BB4_27 Depth=2
	s_add_u32 s12, s18, s17
	s_mov_b32 s4, s17
	s_mov_b32 s5, s17
	s_addc_u32 s13, s17, s17
	s_delay_alu instid0(SALU_CYCLE_1) | instskip(NEXT) | instid1(SALU_CYCLE_1)
	s_xor_b64 s[12:13], s[12:13], s[4:5]
	v_cvt_f32_u32_e32 v11, s12
	v_cvt_f32_u32_e32 v12, s13
	s_sub_u32 s3, 0, s12
	s_subb_u32 s5, 0, s13
	s_delay_alu instid0(VALU_DEP_1) | instskip(NEXT) | instid1(VALU_DEP_1)
	v_fmac_f32_e32 v11, 0x4f800000, v12
	v_rcp_f32_e32 v11, v11
	s_waitcnt_depctr 0xfff
	v_mul_f32_e32 v11, 0x5f7ffffc, v11
	s_delay_alu instid0(VALU_DEP_1) | instskip(NEXT) | instid1(VALU_DEP_1)
	v_mul_f32_e32 v12, 0x2f800000, v11
	v_trunc_f32_e32 v12, v12
	s_delay_alu instid0(VALU_DEP_1) | instskip(SKIP_1) | instid1(VALU_DEP_2)
	v_fmac_f32_e32 v11, 0xcf800000, v12
	v_cvt_u32_f32_e32 v12, v12
	v_cvt_u32_f32_e32 v11, v11
	s_delay_alu instid0(VALU_DEP_2) | instskip(NEXT) | instid1(VALU_DEP_2)
	v_mul_lo_u32 v14, s3, v12
	v_mul_hi_u32 v27, s3, v11
	v_mul_lo_u32 v28, s5, v11
	s_delay_alu instid0(VALU_DEP_2) | instskip(SKIP_1) | instid1(VALU_DEP_2)
	v_add_nc_u32_e32 v14, v27, v14
	v_mul_lo_u32 v27, s3, v11
	v_add_nc_u32_e32 v14, v14, v28
	s_delay_alu instid0(VALU_DEP_2) | instskip(NEXT) | instid1(VALU_DEP_2)
	v_mul_hi_u32 v28, v11, v27
	v_mul_lo_u32 v29, v11, v14
	v_mul_hi_u32 v30, v11, v14
	v_mul_hi_u32 v31, v12, v27
	v_mul_lo_u32 v27, v12, v27
	v_mul_hi_u32 v32, v12, v14
	v_mul_lo_u32 v14, v12, v14
	v_add_co_u32 v28, vcc_lo, v28, v29
	v_add_co_ci_u32_e32 v29, vcc_lo, 0, v30, vcc_lo
	s_delay_alu instid0(VALU_DEP_2) | instskip(NEXT) | instid1(VALU_DEP_2)
	v_add_co_u32 v27, vcc_lo, v28, v27
	v_add_co_ci_u32_e32 v27, vcc_lo, v29, v31, vcc_lo
	v_add_co_ci_u32_e32 v28, vcc_lo, 0, v32, vcc_lo
	v_ashrrev_i32_e32 v31, 31, v3
	s_delay_alu instid0(VALU_DEP_3) | instskip(NEXT) | instid1(VALU_DEP_3)
	v_add_co_u32 v14, vcc_lo, v27, v14
	v_add_co_ci_u32_e32 v27, vcc_lo, 0, v28, vcc_lo
	s_delay_alu instid0(VALU_DEP_2) | instskip(NEXT) | instid1(VALU_DEP_2)
	v_add_co_u32 v11, vcc_lo, v11, v14
	v_add_co_ci_u32_e32 v12, vcc_lo, v12, v27, vcc_lo
	s_delay_alu instid0(VALU_DEP_2) | instskip(SKIP_1) | instid1(VALU_DEP_3)
	v_mul_hi_u32 v14, s3, v11
	v_mul_lo_u32 v28, s5, v11
	v_mul_lo_u32 v27, s3, v12
	s_delay_alu instid0(VALU_DEP_1) | instskip(SKIP_1) | instid1(VALU_DEP_2)
	v_add_nc_u32_e32 v14, v14, v27
	v_mul_lo_u32 v27, s3, v11
	v_add_nc_u32_e32 v14, v14, v28
	s_delay_alu instid0(VALU_DEP_2) | instskip(NEXT) | instid1(VALU_DEP_2)
	v_mul_hi_u32 v28, v11, v27
	v_mul_lo_u32 v29, v11, v14
	v_mul_hi_u32 v30, v11, v14
	v_mul_hi_u32 v32, v12, v27
	v_mul_lo_u32 v27, v12, v27
	v_mul_hi_u32 v33, v12, v14
	v_mul_lo_u32 v14, v12, v14
	v_add_co_u32 v28, vcc_lo, v28, v29
	v_add_co_ci_u32_e32 v29, vcc_lo, 0, v30, vcc_lo
	s_delay_alu instid0(VALU_DEP_2) | instskip(NEXT) | instid1(VALU_DEP_2)
	v_add_co_u32 v27, vcc_lo, v28, v27
	v_add_co_ci_u32_e32 v27, vcc_lo, v29, v32, vcc_lo
	v_add_co_ci_u32_e32 v28, vcc_lo, 0, v33, vcc_lo
	v_add_co_u32 v2, vcc_lo, v2, v31
	v_add_co_ci_u32_e32 v3, vcc_lo, v3, v31, vcc_lo
	s_delay_alu instid0(VALU_DEP_4) | instskip(NEXT) | instid1(VALU_DEP_4)
	v_add_co_u32 v14, vcc_lo, v27, v14
	v_add_co_ci_u32_e32 v27, vcc_lo, 0, v28, vcc_lo
	s_delay_alu instid0(VALU_DEP_4) | instskip(NEXT) | instid1(VALU_DEP_3)
	v_xor_b32_e32 v29, v2, v31
	v_add_co_u32 v14, vcc_lo, v11, v14
	s_delay_alu instid0(VALU_DEP_3) | instskip(SKIP_1) | instid1(VALU_DEP_3)
	v_add_co_ci_u32_e32 v30, vcc_lo, v12, v27, vcc_lo
	v_xor_b32_e32 v32, v3, v31
	v_mul_hi_u32 v33, v29, v14
	s_delay_alu instid0(VALU_DEP_3) | instskip(NEXT) | instid1(VALU_DEP_3)
	v_mad_u64_u32 v[2:3], null, v29, v30, 0
	v_mad_u64_u32 v[11:12], null, v32, v14, 0
	;; [unrolled: 1-line block ×3, first 2 shown]
	s_delay_alu instid0(VALU_DEP_3) | instskip(NEXT) | instid1(VALU_DEP_4)
	v_add_co_u32 v2, vcc_lo, v33, v2
	v_add_co_ci_u32_e32 v3, vcc_lo, 0, v3, vcc_lo
	s_delay_alu instid0(VALU_DEP_2) | instskip(NEXT) | instid1(VALU_DEP_2)
	v_add_co_u32 v2, vcc_lo, v2, v11
	v_add_co_ci_u32_e32 v2, vcc_lo, v3, v12, vcc_lo
	v_add_co_ci_u32_e32 v3, vcc_lo, 0, v28, vcc_lo
	s_delay_alu instid0(VALU_DEP_2) | instskip(NEXT) | instid1(VALU_DEP_2)
	v_add_co_u32 v11, vcc_lo, v2, v27
	v_add_co_ci_u32_e32 v12, vcc_lo, 0, v3, vcc_lo
	s_delay_alu instid0(VALU_DEP_2) | instskip(SKIP_1) | instid1(VALU_DEP_3)
	v_mul_lo_u32 v14, s13, v11
	v_mad_u64_u32 v[2:3], null, s12, v11, 0
	v_mul_lo_u32 v12, s12, v12
	s_delay_alu instid0(VALU_DEP_2) | instskip(NEXT) | instid1(VALU_DEP_2)
	v_sub_co_u32 v2, vcc_lo, v29, v2
	v_add3_u32 v3, v3, v12, v14
	v_add_co_u32 v14, s3, v11, 2
	s_delay_alu instid0(VALU_DEP_2) | instskip(NEXT) | instid1(VALU_DEP_1)
	v_sub_nc_u32_e32 v12, v32, v3
	v_subrev_co_ci_u32_e64 v12, s3, s13, v12, vcc_lo
	v_sub_co_u32 v27, s3, v2, s12
	v_sub_co_ci_u32_e32 v3, vcc_lo, v32, v3, vcc_lo
	s_delay_alu instid0(VALU_DEP_3) | instskip(NEXT) | instid1(VALU_DEP_3)
	v_subrev_co_ci_u32_e64 v12, s3, 0, v12, s3
	v_cmp_le_u32_e32 vcc_lo, s12, v27
	v_cndmask_b32_e64 v27, 0, -1, vcc_lo
	s_delay_alu instid0(VALU_DEP_3)
	v_cmp_le_u32_e32 vcc_lo, s13, v12
	v_cndmask_b32_e64 v28, 0, -1, vcc_lo
	v_cmp_le_u32_e32 vcc_lo, s12, v2
	v_cndmask_b32_e64 v2, 0, -1, vcc_lo
	;; [unrolled: 2-line block ×3, first 2 shown]
	v_cmp_eq_u32_e32 vcc_lo, s13, v12
	v_cndmask_b32_e32 v12, v28, v27, vcc_lo
	v_add_co_u32 v27, vcc_lo, v11, 1
	v_cmp_eq_u32_e32 vcc_lo, s13, v3
	v_cndmask_b32_e32 v2, v29, v2, vcc_lo
	s_delay_alu instid0(VALU_DEP_4) | instskip(NEXT) | instid1(VALU_DEP_4)
	v_cmp_ne_u32_e32 vcc_lo, 0, v12
	v_cndmask_b32_e32 v3, v27, v14, vcc_lo
	s_delay_alu instid0(VALU_DEP_3) | instskip(NEXT) | instid1(VALU_DEP_2)
	v_cmp_ne_u32_e32 vcc_lo, 0, v2
                                        ; implicit-def: $vgpr14
	v_cndmask_b32_e32 v2, v11, v3, vcc_lo
	v_xor_b32_e32 v3, s4, v31
	s_delay_alu instid0(VALU_DEP_1) | instskip(NEXT) | instid1(VALU_DEP_1)
	v_xor_b32_e32 v2, v2, v3
	v_sub_co_u32 v11, vcc_lo, v2, v3
                                        ; implicit-def: $vgpr2_vgpr3
	s_and_not1_saveexec_b32 s3, s30
	s_cbranch_execz .LBB4_33
.LBB4_35:                               ;   in Loop: Header=BB4_27 Depth=2
	v_rcp_iflag_f32_e32 v3, v14
	s_sub_i32 s4, 0, s18
	s_waitcnt_depctr 0xfff
	v_mul_f32_e32 v3, 0x4f7ffffe, v3
	s_delay_alu instid0(VALU_DEP_1) | instskip(NEXT) | instid1(VALU_DEP_1)
	v_cvt_u32_f32_e32 v3, v3
	v_mul_lo_u32 v11, s4, v3
	s_delay_alu instid0(VALU_DEP_1) | instskip(NEXT) | instid1(VALU_DEP_1)
	v_mul_hi_u32 v11, v3, v11
	v_add_nc_u32_e32 v3, v3, v11
	s_delay_alu instid0(VALU_DEP_1) | instskip(NEXT) | instid1(VALU_DEP_1)
	v_mul_hi_u32 v3, v2, v3
	v_mul_lo_u32 v11, v3, s18
	s_delay_alu instid0(VALU_DEP_1) | instskip(SKIP_1) | instid1(VALU_DEP_2)
	v_sub_nc_u32_e32 v2, v2, v11
	v_add_nc_u32_e32 v11, 1, v3
	v_subrev_nc_u32_e32 v12, s18, v2
	v_cmp_le_u32_e32 vcc_lo, s18, v2
	s_delay_alu instid0(VALU_DEP_2) | instskip(NEXT) | instid1(VALU_DEP_1)
	v_dual_cndmask_b32 v2, v2, v12 :: v_dual_cndmask_b32 v3, v3, v11
	v_cmp_le_u32_e32 vcc_lo, s18, v2
	s_delay_alu instid0(VALU_DEP_2) | instskip(NEXT) | instid1(VALU_DEP_1)
	v_add_nc_u32_e32 v11, 1, v3
	v_cndmask_b32_e32 v11, v3, v11, vcc_lo
	s_or_b32 exec_lo, exec_lo, s3
	s_delay_alu instid0(SALU_CYCLE_1)
	s_and_not1_b32 vcc_lo, exec_lo, s1
	s_cbranch_vccnz .LBB4_26
.LBB4_36:                               ;   in Loop: Header=BB4_27 Depth=2
	v_lshlrev_b64 v[2:3], 3, v[7:8]
	s_mov_b32 s5, 0
	s_delay_alu instid0(VALU_DEP_1) | instskip(NEXT) | instid1(VALU_DEP_2)
	v_add_co_u32 v2, vcc_lo, v25, v2
	v_add_co_ci_u32_e32 v3, vcc_lo, v26, v3, vcc_lo
	global_load_b64 v[2:3], v[2:3], off
	s_waitcnt vmcnt(0)
	v_div_scale_f64 v[27:28], null, v[5:6], v[5:6], v[2:3]
	v_div_scale_f64 v[33:34], vcc_lo, v[2:3], v[5:6], v[2:3]
	s_delay_alu instid0(VALU_DEP_2) | instskip(SKIP_2) | instid1(VALU_DEP_1)
	v_rcp_f64_e32 v[29:30], v[27:28]
	s_waitcnt_depctr 0xfff
	v_fma_f64 v[31:32], -v[27:28], v[29:30], 1.0
	v_fma_f64 v[29:30], v[29:30], v[31:32], v[29:30]
	s_delay_alu instid0(VALU_DEP_1) | instskip(NEXT) | instid1(VALU_DEP_1)
	v_fma_f64 v[31:32], -v[27:28], v[29:30], 1.0
	v_fma_f64 v[29:30], v[29:30], v[31:32], v[29:30]
	s_delay_alu instid0(VALU_DEP_1) | instskip(NEXT) | instid1(VALU_DEP_1)
	v_mul_f64 v[31:32], v[33:34], v[29:30]
	v_fma_f64 v[27:28], -v[27:28], v[31:32], v[33:34]
	s_delay_alu instid0(VALU_DEP_1) | instskip(NEXT) | instid1(VALU_DEP_1)
	v_div_fmas_f64 v[27:28], v[27:28], v[29:30], v[31:32]
	v_div_fixup_f64 v[2:3], v[27:28], v[5:6], v[2:3]
	s_delay_alu instid0(VALU_DEP_1) | instskip(SKIP_1) | instid1(VALU_DEP_2)
	v_div_scale_f64 v[27:28], null, v[9:10], v[9:10], v[2:3]
	v_div_scale_f64 v[33:34], vcc_lo, v[2:3], v[9:10], v[2:3]
	v_rcp_f64_e32 v[29:30], v[27:28]
	s_waitcnt_depctr 0xfff
	v_fma_f64 v[31:32], -v[27:28], v[29:30], 1.0
	s_delay_alu instid0(VALU_DEP_1) | instskip(NEXT) | instid1(VALU_DEP_1)
	v_fma_f64 v[29:30], v[29:30], v[31:32], v[29:30]
	v_fma_f64 v[31:32], -v[27:28], v[29:30], 1.0
	s_delay_alu instid0(VALU_DEP_1) | instskip(NEXT) | instid1(VALU_DEP_1)
	v_fma_f64 v[29:30], v[29:30], v[31:32], v[29:30]
	v_mul_f64 v[31:32], v[33:34], v[29:30]
	s_delay_alu instid0(VALU_DEP_1) | instskip(NEXT) | instid1(VALU_DEP_1)
	v_fma_f64 v[27:28], -v[27:28], v[31:32], v[33:34]
	v_div_fmas_f64 v[28:29], v[27:28], v[29:30], v[31:32]
	v_mad_i64_i32 v[30:31], null, v13, s6, v[0:1]
	s_delay_alu instid0(VALU_DEP_1) | instskip(NEXT) | instid1(VALU_DEP_1)
	v_sub_nc_u32_e32 v0, v11, v30
	v_add_nc_u32_e32 v27, 1, v0
	s_delay_alu instid0(VALU_DEP_1) | instskip(SKIP_1) | instid1(VALU_DEP_1)
	v_cvt_f64_i32_e32 v[0:1], v27
	v_div_fixup_f64 v[2:3], v[28:29], v[9:10], v[2:3]
	v_div_scale_f64 v[11:12], null, v[0:1], v[0:1], v[2:3]
	s_delay_alu instid0(VALU_DEP_1) | instskip(SKIP_2) | instid1(VALU_DEP_1)
	v_rcp_f64_e32 v[13:14], v[11:12]
	s_waitcnt_depctr 0xfff
	v_fma_f64 v[28:29], -v[11:12], v[13:14], 1.0
	v_fma_f64 v[13:14], v[13:14], v[28:29], v[13:14]
	s_delay_alu instid0(VALU_DEP_1) | instskip(NEXT) | instid1(VALU_DEP_1)
	v_fma_f64 v[28:29], -v[11:12], v[13:14], 1.0
	v_fma_f64 v[13:14], v[13:14], v[28:29], v[13:14]
	v_div_scale_f64 v[28:29], vcc_lo, v[2:3], v[0:1], v[2:3]
	s_delay_alu instid0(VALU_DEP_1) | instskip(NEXT) | instid1(VALU_DEP_1)
	v_mul_f64 v[31:32], v[28:29], v[13:14]
	v_fma_f64 v[11:12], -v[11:12], v[31:32], v[28:29]
	s_delay_alu instid0(VALU_DEP_1) | instskip(NEXT) | instid1(VALU_DEP_1)
	v_div_fmas_f64 v[11:12], v[11:12], v[13:14], v[31:32]
	v_div_fixup_f64 v[11:12], v[11:12], v[0:1], v[2:3]
	v_dual_mov_b32 v0, v8 :: v_dual_mov_b32 v1, v30
	v_cmp_lt_i32_e64 s3, 0, v27
	s_delay_alu instid0(VALU_DEP_2) | instskip(NEXT) | instid1(VALU_DEP_1)
	v_ashrrev_i64 v[0:1], 29, v[0:1]
	v_add_co_u32 v28, vcc_lo, v23, v0
	s_delay_alu instid0(VALU_DEP_2)
	v_add_co_ci_u32_e32 v29, vcc_lo, v24, v1, vcc_lo
	s_branch .LBB4_38
.LBB4_37:                               ;   in Loop: Header=BB4_38 Depth=3
	s_set_inst_prefetch_distance 0x2
	s_or_b32 exec_lo, exec_lo, s4
	s_add_i32 s5, s5, 1
	v_add_co_u32 v28, s4, v28, s10
	v_cmp_ne_u32_e32 vcc_lo, s5, v16
	v_add_co_ci_u32_e64 v29, s4, s11, v29, s4
	s_cbranch_vccz .LBB4_26
.LBB4_38:                               ;   Parent Loop BB4_12 Depth=1
                                        ;     Parent Loop BB4_27 Depth=2
                                        ; =>    This Loop Header: Depth=3
                                        ;         Child Loop BB4_41 Depth 4
                                        ;           Child Loop BB4_43 Depth 5
                                        ;             Child Loop BB4_44 Depth 6
	s_and_saveexec_b32 s4, s2
	s_cbranch_execz .LBB4_37
; %bb.39:                               ;   in Loop: Header=BB4_38 Depth=3
	s_mov_b32 s12, 0
	s_mov_b32 s13, 0
	s_set_inst_prefetch_distance 0x1
	s_branch .LBB4_41
	.p2align	6
.LBB4_40:                               ;   in Loop: Header=BB4_41 Depth=4
	s_or_b32 exec_lo, exec_lo, s30
	s_add_i32 s13, s13, 1
	s_delay_alu instid0(SALU_CYCLE_1) | instskip(SKIP_1) | instid1(SALU_CYCLE_1)
	v_cmp_ge_i32_e32 vcc_lo, s13, v22
	s_or_b32 s12, vcc_lo, s12
	s_and_not1_b32 exec_lo, exec_lo, s12
	s_cbranch_execz .LBB4_37
.LBB4_41:                               ;   Parent Loop BB4_12 Depth=1
                                        ;     Parent Loop BB4_27 Depth=2
                                        ;       Parent Loop BB4_38 Depth=3
                                        ; =>      This Loop Header: Depth=4
                                        ;           Child Loop BB4_43 Depth 5
                                        ;             Child Loop BB4_44 Depth 6
	s_and_saveexec_b32 s30, s3
	s_cbranch_execz .LBB4_40
; %bb.42:                               ;   in Loop: Header=BB4_41 Depth=4
	s_mul_i32 s31, s13, s6
	s_mov_b32 s33, 0
	s_mov_b32 s34, 0
	.p2align	6
.LBB4_43:                               ;   Parent Loop BB4_12 Depth=1
                                        ;     Parent Loop BB4_27 Depth=2
                                        ;       Parent Loop BB4_38 Depth=3
                                        ;         Parent Loop BB4_41 Depth=4
                                        ; =>        This Loop Header: Depth=5
                                        ;             Child Loop BB4_44 Depth 6
	s_delay_alu instid0(SALU_CYCLE_1) | instskip(SKIP_2) | instid1(SALU_CYCLE_1)
	s_add_i32 s36, s34, s31
	s_mov_b32 s35, 0
	s_ashr_i32 s37, s36, 31
	s_lshl_b64 s[36:37], s[36:37], 3
	s_delay_alu instid0(SALU_CYCLE_1)
	v_add_co_u32 v13, vcc_lo, v28, s36
	v_add_co_ci_u32_e32 v14, vcc_lo, s37, v29, vcc_lo
	global_load_b64 v[2:3], v[13:14], off
.LBB4_44:                               ;   Parent Loop BB4_12 Depth=1
                                        ;     Parent Loop BB4_27 Depth=2
                                        ;       Parent Loop BB4_38 Depth=3
                                        ;         Parent Loop BB4_41 Depth=4
                                        ;           Parent Loop BB4_43 Depth=5
                                        ; =>          This Inner Loop Header: Depth=6
	s_waitcnt vmcnt(0)
	v_add_f64 v[0:1], v[2:3], v[11:12]
	global_atomic_cmpswap_b64 v[0:1], v[13:14], v[0:3], off glc
	s_waitcnt vmcnt(0)
	v_cmp_eq_u64_e32 vcc_lo, v[0:1], v[2:3]
	v_dual_mov_b32 v3, v1 :: v_dual_mov_b32 v2, v0
	s_or_b32 s35, vcc_lo, s35
	s_delay_alu instid0(SALU_CYCLE_1)
	s_and_not1_b32 exec_lo, exec_lo, s35
	s_cbranch_execnz .LBB4_44
; %bb.45:                               ;   in Loop: Header=BB4_43 Depth=5
	s_or_b32 exec_lo, exec_lo, s35
	s_add_i32 s34, s34, 1
	s_delay_alu instid0(SALU_CYCLE_1) | instskip(SKIP_1) | instid1(SALU_CYCLE_1)
	v_cmp_ge_i32_e32 vcc_lo, s34, v27
	s_or_b32 s33, vcc_lo, s33
	s_and_not1_b32 exec_lo, exec_lo, s33
	s_cbranch_execnz .LBB4_43
	s_branch .LBB4_40
.LBB4_46:
	s_endpgm
.LBB4_47:
                                        ; implicit-def: $sgpr16_sgpr17
	s_branch .LBB4_2
.LBB4_48:
                                        ; implicit-def: $vgpr1_vgpr2
	s_load_b32 s24, s[0:1], 0x3c
	s_branch .LBB4_5
.LBB4_49:
                                        ; implicit-def: $vgpr2_vgpr3
	s_load_b32 s3, s[0:1], 0x34
	s_branch .LBB4_9
	.section	.rodata,"a",@progbits
	.p2align	6, 0x0
	.amdhsa_kernel _ZN2at6native12_GLOBAL__N_130atomicadaptiveaveragegradinputIdEEvPT_PKS3_iiiiiil
		.amdhsa_group_segment_fixed_size 0
		.amdhsa_private_segment_fixed_size 0
		.amdhsa_kernarg_size 304
		.amdhsa_user_sgpr_count 14
		.amdhsa_user_sgpr_dispatch_ptr 0
		.amdhsa_user_sgpr_queue_ptr 0
		.amdhsa_user_sgpr_kernarg_segment_ptr 1
		.amdhsa_user_sgpr_dispatch_id 0
		.amdhsa_user_sgpr_private_segment_size 0
		.amdhsa_wavefront_size32 1
		.amdhsa_uses_dynamic_stack 0
		.amdhsa_enable_private_segment 0
		.amdhsa_system_sgpr_workgroup_id_x 1
		.amdhsa_system_sgpr_workgroup_id_y 1
		.amdhsa_system_sgpr_workgroup_id_z 0
		.amdhsa_system_sgpr_workgroup_info 0
		.amdhsa_system_vgpr_workitem_id 1
		.amdhsa_next_free_vgpr 35
		.amdhsa_next_free_sgpr 38
		.amdhsa_reserve_vcc 1
		.amdhsa_float_round_mode_32 0
		.amdhsa_float_round_mode_16_64 0
		.amdhsa_float_denorm_mode_32 3
		.amdhsa_float_denorm_mode_16_64 3
		.amdhsa_dx10_clamp 1
		.amdhsa_ieee_mode 1
		.amdhsa_fp16_overflow 0
		.amdhsa_workgroup_processor_mode 1
		.amdhsa_memory_ordered 1
		.amdhsa_forward_progress 0
		.amdhsa_shared_vgpr_count 0
		.amdhsa_exception_fp_ieee_invalid_op 0
		.amdhsa_exception_fp_denorm_src 0
		.amdhsa_exception_fp_ieee_div_zero 0
		.amdhsa_exception_fp_ieee_overflow 0
		.amdhsa_exception_fp_ieee_underflow 0
		.amdhsa_exception_fp_ieee_inexact 0
		.amdhsa_exception_int_div_zero 0
	.end_amdhsa_kernel
	.section	.text._ZN2at6native12_GLOBAL__N_130atomicadaptiveaveragegradinputIdEEvPT_PKS3_iiiiiil,"axG",@progbits,_ZN2at6native12_GLOBAL__N_130atomicadaptiveaveragegradinputIdEEvPT_PKS3_iiiiiil,comdat
.Lfunc_end4:
	.size	_ZN2at6native12_GLOBAL__N_130atomicadaptiveaveragegradinputIdEEvPT_PKS3_iiiiiil, .Lfunc_end4-_ZN2at6native12_GLOBAL__N_130atomicadaptiveaveragegradinputIdEEvPT_PKS3_iiiiiil
                                        ; -- End function
	.section	.AMDGPU.csdata,"",@progbits
; Kernel info:
; codeLenInByte = 8072
; NumSgprs: 40
; NumVgprs: 35
; ScratchSize: 0
; MemoryBound: 0
; FloatMode: 240
; IeeeMode: 1
; LDSByteSize: 0 bytes/workgroup (compile time only)
; SGPRBlocks: 4
; VGPRBlocks: 4
; NumSGPRsForWavesPerEU: 40
; NumVGPRsForWavesPerEU: 35
; Occupancy: 16
; WaveLimiterHint : 0
; COMPUTE_PGM_RSRC2:SCRATCH_EN: 0
; COMPUTE_PGM_RSRC2:USER_SGPR: 14
; COMPUTE_PGM_RSRC2:TRAP_HANDLER: 0
; COMPUTE_PGM_RSRC2:TGID_X_EN: 1
; COMPUTE_PGM_RSRC2:TGID_Y_EN: 1
; COMPUTE_PGM_RSRC2:TGID_Z_EN: 0
; COMPUTE_PGM_RSRC2:TIDIG_COMP_CNT: 1
	.section	.text._ZN2at6native12_GLOBAL__N_130atomicadaptiveaveragegradinputIfEEvPT_PKS3_iiiiiil,"axG",@progbits,_ZN2at6native12_GLOBAL__N_130atomicadaptiveaveragegradinputIfEEvPT_PKS3_iiiiiil,comdat
	.globl	_ZN2at6native12_GLOBAL__N_130atomicadaptiveaveragegradinputIfEEvPT_PKS3_iiiiiil ; -- Begin function _ZN2at6native12_GLOBAL__N_130atomicadaptiveaveragegradinputIfEEvPT_PKS3_iiiiiil
	.p2align	8
	.type	_ZN2at6native12_GLOBAL__N_130atomicadaptiveaveragegradinputIfEEvPT_PKS3_iiiiiil,@function
_ZN2at6native12_GLOBAL__N_130atomicadaptiveaveragegradinputIfEEvPT_PKS3_iiiiiil: ; @_ZN2at6native12_GLOBAL__N_130atomicadaptiveaveragegradinputIfEEvPT_PKS3_iiiiiil
; %bb.0:
	s_load_b256 s[4:11], s[0:1], 0x10
	s_waitcnt lgkmcnt(0)
	s_add_u32 s10, s14, s10
	s_addc_u32 s11, 0, s11
	s_ashr_i32 s13, s7, 31
	s_mov_b32 s12, s7
	s_delay_alu instid0(SALU_CYCLE_1) | instskip(SKIP_1) | instid1(SALU_CYCLE_1)
	s_or_b64 s[2:3], s[10:11], s[12:13]
	s_mov_b32 s2, 0
	s_cmp_lg_u64 s[2:3], 0
	s_cbranch_scc0 .LBB5_47
; %bb.1:
	s_add_u32 s18, s12, s13
	s_mov_b32 s16, s13
	s_mov_b32 s17, s13
	s_addc_u32 s19, s13, s13
	s_delay_alu instid0(SALU_CYCLE_1) | instskip(NEXT) | instid1(SALU_CYCLE_1)
	s_xor_b64 s[18:19], s[18:19], s[16:17]
	v_cvt_f32_u32_e32 v1, s18
	v_cvt_f32_u32_e32 v2, s19
	s_sub_u32 s14, 0, s18
	s_subb_u32 s20, 0, s19
	s_delay_alu instid0(VALU_DEP_1) | instskip(NEXT) | instid1(VALU_DEP_1)
	v_fmamk_f32 v1, v2, 0x4f800000, v1
	v_rcp_f32_e32 v1, v1
	s_waitcnt_depctr 0xfff
	v_mul_f32_e32 v1, 0x5f7ffffc, v1
	s_delay_alu instid0(VALU_DEP_1) | instskip(NEXT) | instid1(VALU_DEP_1)
	v_mul_f32_e32 v2, 0x2f800000, v1
	v_trunc_f32_e32 v2, v2
	s_delay_alu instid0(VALU_DEP_1) | instskip(SKIP_1) | instid1(VALU_DEP_2)
	v_fmamk_f32 v1, v2, 0xcf800000, v1
	v_cvt_u32_f32_e32 v2, v2
	v_cvt_u32_f32_e32 v1, v1
	s_delay_alu instid0(VALU_DEP_2) | instskip(NEXT) | instid1(VALU_DEP_2)
	v_readfirstlane_b32 s3, v2
	v_readfirstlane_b32 s7, v1
	s_delay_alu instid0(VALU_DEP_2) | instskip(NEXT) | instid1(VALU_DEP_1)
	s_mul_i32 s21, s14, s3
	s_mul_hi_u32 s23, s14, s7
	s_mul_i32 s22, s20, s7
	s_add_i32 s21, s23, s21
	s_mul_i32 s24, s14, s7
	s_add_i32 s21, s21, s22
	s_mul_hi_u32 s23, s7, s24
	s_mul_hi_u32 s25, s3, s24
	s_mul_i32 s22, s3, s24
	s_mul_hi_u32 s24, s7, s21
	s_mul_i32 s7, s7, s21
	s_mul_hi_u32 s26, s3, s21
	s_add_u32 s7, s23, s7
	s_addc_u32 s23, 0, s24
	s_add_u32 s7, s7, s22
	s_mul_i32 s21, s3, s21
	s_addc_u32 s7, s23, s25
	s_addc_u32 s22, s26, 0
	s_add_u32 s7, s7, s21
	s_addc_u32 s21, 0, s22
	v_add_co_u32 v1, s7, v1, s7
	s_delay_alu instid0(VALU_DEP_1) | instskip(SKIP_1) | instid1(VALU_DEP_1)
	s_cmp_lg_u32 s7, 0
	s_addc_u32 s3, s3, s21
	v_readfirstlane_b32 s7, v1
	s_mul_i32 s21, s14, s3
	s_delay_alu instid0(VALU_DEP_1)
	s_mul_hi_u32 s22, s14, s7
	s_mul_i32 s20, s20, s7
	s_add_i32 s21, s22, s21
	s_mul_i32 s14, s14, s7
	s_add_i32 s21, s21, s20
	s_mul_hi_u32 s22, s3, s14
	s_mul_i32 s23, s3, s14
	s_mul_hi_u32 s14, s7, s14
	s_mul_hi_u32 s24, s7, s21
	s_mul_i32 s7, s7, s21
	s_mul_hi_u32 s20, s3, s21
	s_add_u32 s7, s14, s7
	s_addc_u32 s14, 0, s24
	s_add_u32 s7, s7, s23
	s_mul_i32 s21, s3, s21
	s_addc_u32 s7, s14, s22
	s_addc_u32 s14, s20, 0
	s_add_u32 s7, s7, s21
	s_addc_u32 s14, 0, s14
	v_add_co_u32 v1, s7, v1, s7
	s_delay_alu instid0(VALU_DEP_1) | instskip(SKIP_2) | instid1(VALU_DEP_1)
	s_cmp_lg_u32 s7, 0
	s_addc_u32 s3, s3, s14
	s_ashr_i32 s20, s11, 31
	v_readfirstlane_b32 s7, v1
	s_add_u32 s22, s10, s20
	s_mov_b32 s21, s20
	s_addc_u32 s23, s11, s20
	s_delay_alu instid0(SALU_CYCLE_1) | instskip(NEXT) | instid1(SALU_CYCLE_1)
	s_xor_b64 s[22:23], s[22:23], s[20:21]
	s_mul_i32 s24, s22, s3
	s_mul_hi_u32 s25, s22, s7
	s_mul_hi_u32 s14, s22, s3
	;; [unrolled: 1-line block ×3, first 2 shown]
	s_mul_i32 s7, s23, s7
	s_add_u32 s24, s25, s24
	s_addc_u32 s14, 0, s14
	s_mul_hi_u32 s26, s23, s3
	s_add_u32 s7, s24, s7
	s_mul_i32 s3, s23, s3
	s_addc_u32 s7, s14, s27
	s_addc_u32 s14, s26, 0
	s_add_u32 s3, s7, s3
	s_addc_u32 s7, 0, s14
	s_mul_i32 s26, s18, s3
	s_mul_hi_u32 s14, s18, s3
	s_mul_i32 s25, s18, s7
	v_sub_co_u32 v1, s22, s22, s26
	s_mul_i32 s24, s19, s3
	s_add_i32 s14, s14, s25
	s_delay_alu instid0(SALU_CYCLE_1) | instskip(NEXT) | instid1(VALU_DEP_1)
	s_add_i32 s14, s14, s24
	v_sub_co_u32 v2, s25, v1, s18
	s_sub_i32 s24, s23, s14
	s_cmp_lg_u32 s22, 0
	s_subb_u32 s24, s24, s19
	s_cmp_lg_u32 s25, 0
	v_readfirstlane_b32 s25, v2
	s_subb_u32 s24, s24, 0
	s_delay_alu instid0(SALU_CYCLE_1) | instskip(SKIP_1) | instid1(VALU_DEP_1)
	s_cmp_ge_u32 s24, s19
	s_cselect_b32 s26, -1, 0
	s_cmp_ge_u32 s25, s18
	s_cselect_b32 s25, -1, 0
	s_cmp_eq_u32 s24, s19
	s_cselect_b32 s24, s25, s26
	s_add_u32 s25, s3, 1
	s_addc_u32 s26, s7, 0
	s_add_u32 s27, s3, 2
	s_addc_u32 s28, s7, 0
	s_cmp_lg_u32 s24, 0
	s_cselect_b32 s24, s27, s25
	s_cselect_b32 s25, s28, s26
	s_cmp_lg_u32 s22, 0
	v_readfirstlane_b32 s22, v1
	s_subb_u32 s14, s23, s14
	s_delay_alu instid0(SALU_CYCLE_1) | instskip(SKIP_1) | instid1(VALU_DEP_1)
	s_cmp_ge_u32 s14, s19
	s_cselect_b32 s23, -1, 0
	s_cmp_ge_u32 s22, s18
	s_cselect_b32 s18, -1, 0
	s_cmp_eq_u32 s14, s19
	s_cselect_b32 s14, s18, s23
	s_delay_alu instid0(SALU_CYCLE_1) | instskip(SKIP_3) | instid1(SALU_CYCLE_1)
	s_cmp_lg_u32 s14, 0
	s_cselect_b32 s19, s25, s7
	s_cselect_b32 s18, s24, s3
	s_xor_b64 s[16:17], s[20:21], s[16:17]
	s_xor_b64 s[18:19], s[18:19], s[16:17]
	s_delay_alu instid0(SALU_CYCLE_1)
	s_sub_u32 s16, s18, s16
	s_subb_u32 s17, s19, s17
	s_and_not1_b32 vcc_lo, exec_lo, s2
	s_cbranch_vccnz .LBB5_3
.LBB5_2:
	v_cvt_f32_u32_e32 v1, s12
	s_sub_i32 s3, 0, s12
	s_mov_b32 s17, 0
	s_delay_alu instid0(VALU_DEP_1) | instskip(SKIP_2) | instid1(VALU_DEP_1)
	v_rcp_iflag_f32_e32 v1, v1
	s_waitcnt_depctr 0xfff
	v_mul_f32_e32 v1, 0x4f7ffffe, v1
	v_cvt_u32_f32_e32 v1, v1
	s_delay_alu instid0(VALU_DEP_1) | instskip(NEXT) | instid1(VALU_DEP_1)
	v_readfirstlane_b32 s2, v1
	s_mul_i32 s3, s3, s2
	s_delay_alu instid0(SALU_CYCLE_1) | instskip(NEXT) | instid1(SALU_CYCLE_1)
	s_mul_hi_u32 s3, s2, s3
	s_add_i32 s2, s2, s3
	s_delay_alu instid0(SALU_CYCLE_1) | instskip(NEXT) | instid1(SALU_CYCLE_1)
	s_mul_hi_u32 s2, s10, s2
	s_mul_i32 s3, s2, s12
	s_add_i32 s7, s2, 1
	s_sub_i32 s3, s10, s3
	s_delay_alu instid0(SALU_CYCLE_1)
	s_sub_i32 s14, s3, s12
	s_cmp_ge_u32 s3, s12
	s_cselect_b32 s2, s7, s2
	s_cselect_b32 s3, s14, s3
	s_add_i32 s7, s2, 1
	s_cmp_ge_u32 s3, s12
	s_cselect_b32 s16, s7, s2
.LBB5_3:
	s_delay_alu instid0(SALU_CYCLE_1) | instskip(SKIP_4) | instid1(SALU_CYCLE_1)
	s_mul_i32 s2, s16, s13
	s_mul_hi_u32 s3, s16, s12
	s_mul_i32 s7, s16, s12
	s_add_i32 s2, s3, s2
	s_mul_i32 s3, s17, s12
	s_add_i32 s2, s2, s3
	s_sub_u32 s3, s10, s7
	s_subb_u32 s2, s11, s2
	s_ashr_i32 s7, s4, 31
	s_mul_hi_u32 s17, s3, s4
	s_mul_i32 s14, s3, s7
	s_mul_i32 s2, s2, s4
	s_add_i32 s14, s17, s14
	s_mul_i32 s18, s3, s4
	s_add_i32 s19, s14, s2
	s_mov_b32 s14, s4
	s_or_b64 s[20:21], s[18:19], s[12:13]
	s_mov_b32 s20, 0
	s_delay_alu instid0(SALU_CYCLE_1)
	s_cmp_lg_u64 s[20:21], 0
	s_cbranch_scc0 .LBB5_48
; %bb.4:
	s_add_u32 s2, s12, s13
	s_mov_b32 s22, s13
	s_mov_b32 s23, s13
	s_addc_u32 s3, s13, s13
	s_delay_alu instid0(SALU_CYCLE_1) | instskip(NEXT) | instid1(SALU_CYCLE_1)
	s_xor_b64 s[2:3], s[2:3], s[22:23]
	v_cvt_f32_u32_e32 v1, s2
	v_cvt_f32_u32_e32 v2, s3
	s_sub_u32 s24, 0, s2
	s_subb_u32 s25, 0, s3
	s_delay_alu instid0(VALU_DEP_1) | instskip(NEXT) | instid1(VALU_DEP_1)
	v_fmamk_f32 v1, v2, 0x4f800000, v1
	v_rcp_f32_e32 v1, v1
	s_waitcnt_depctr 0xfff
	v_mul_f32_e32 v1, 0x5f7ffffc, v1
	s_delay_alu instid0(VALU_DEP_1) | instskip(NEXT) | instid1(VALU_DEP_1)
	v_mul_f32_e32 v2, 0x2f800000, v1
	v_trunc_f32_e32 v2, v2
	s_delay_alu instid0(VALU_DEP_1) | instskip(SKIP_1) | instid1(VALU_DEP_2)
	v_fmamk_f32 v1, v2, 0xcf800000, v1
	v_cvt_u32_f32_e32 v2, v2
	v_cvt_u32_f32_e32 v1, v1
	s_delay_alu instid0(VALU_DEP_2) | instskip(NEXT) | instid1(VALU_DEP_2)
	v_readfirstlane_b32 s17, v2
	v_readfirstlane_b32 s21, v1
	s_delay_alu instid0(VALU_DEP_2) | instskip(NEXT) | instid1(VALU_DEP_1)
	s_mul_i32 s26, s24, s17
	s_mul_hi_u32 s28, s24, s21
	s_mul_i32 s27, s25, s21
	s_add_i32 s26, s28, s26
	s_mul_i32 s29, s24, s21
	s_add_i32 s26, s26, s27
	s_mul_hi_u32 s28, s21, s29
	s_mul_hi_u32 s30, s17, s29
	s_mul_i32 s27, s17, s29
	s_mul_hi_u32 s29, s21, s26
	s_mul_i32 s21, s21, s26
	s_mul_hi_u32 s31, s17, s26
	s_add_u32 s21, s28, s21
	s_addc_u32 s28, 0, s29
	s_add_u32 s21, s21, s27
	s_mul_i32 s26, s17, s26
	s_addc_u32 s21, s28, s30
	s_addc_u32 s27, s31, 0
	s_add_u32 s21, s21, s26
	s_addc_u32 s26, 0, s27
	v_add_co_u32 v1, s21, v1, s21
	s_delay_alu instid0(VALU_DEP_1) | instskip(SKIP_1) | instid1(VALU_DEP_1)
	s_cmp_lg_u32 s21, 0
	s_addc_u32 s17, s17, s26
	v_readfirstlane_b32 s21, v1
	s_mul_i32 s26, s24, s17
	s_delay_alu instid0(VALU_DEP_1)
	s_mul_hi_u32 s27, s24, s21
	s_mul_i32 s25, s25, s21
	s_add_i32 s26, s27, s26
	s_mul_i32 s24, s24, s21
	s_add_i32 s26, s26, s25
	s_mul_hi_u32 s27, s17, s24
	s_mul_i32 s28, s17, s24
	s_mul_hi_u32 s24, s21, s24
	s_mul_hi_u32 s29, s21, s26
	s_mul_i32 s21, s21, s26
	s_mul_hi_u32 s25, s17, s26
	s_add_u32 s21, s24, s21
	s_addc_u32 s24, 0, s29
	s_add_u32 s21, s21, s28
	s_mul_i32 s26, s17, s26
	s_addc_u32 s21, s24, s27
	s_addc_u32 s24, s25, 0
	s_add_u32 s21, s21, s26
	s_addc_u32 s24, 0, s24
	v_add_co_u32 v1, s21, v1, s21
	s_delay_alu instid0(VALU_DEP_1) | instskip(SKIP_2) | instid1(VALU_DEP_1)
	s_cmp_lg_u32 s21, 0
	s_addc_u32 s17, s17, s24
	s_ashr_i32 s24, s19, 31
	v_readfirstlane_b32 s21, v1
	s_add_u32 s26, s18, s24
	s_mov_b32 s25, s24
	s_addc_u32 s27, s19, s24
	s_delay_alu instid0(SALU_CYCLE_1) | instskip(NEXT) | instid1(SALU_CYCLE_1)
	s_xor_b64 s[26:27], s[26:27], s[24:25]
	s_mul_i32 s29, s26, s17
	s_mul_hi_u32 s30, s26, s21
	s_mul_hi_u32 s28, s26, s17
	;; [unrolled: 1-line block ×3, first 2 shown]
	s_mul_i32 s21, s27, s21
	s_add_u32 s29, s30, s29
	s_addc_u32 s28, 0, s28
	s_mul_hi_u32 s31, s27, s17
	s_add_u32 s21, s29, s21
	s_mul_i32 s17, s27, s17
	s_addc_u32 s21, s28, s33
	s_addc_u32 s28, s31, 0
	s_add_u32 s17, s21, s17
	s_addc_u32 s21, 0, s28
	s_mul_hi_u32 s28, s2, s17
	s_mul_i32 s21, s2, s21
	s_mul_i32 s30, s2, s17
	;; [unrolled: 1-line block ×3, first 2 shown]
	s_add_i32 s21, s28, s21
	v_sub_co_u32 v1, s26, s26, s30
	s_add_i32 s21, s21, s29
	s_delay_alu instid0(SALU_CYCLE_1) | instskip(SKIP_1) | instid1(VALU_DEP_1)
	s_sub_i32 s28, s27, s21
	s_cmp_lg_u32 s26, 0
	v_sub_co_u32 v2, s29, v1, s2
	s_subb_u32 s28, s28, s3
	s_cmp_lg_u32 s29, 0
	s_subb_u32 s28, s28, 0
	s_delay_alu instid0(VALU_DEP_1)
	v_cmp_le_u32_e32 vcc_lo, s2, v2
	s_cmp_ge_u32 s28, s3
	v_cmp_le_u32_e64 s2, s2, v1
	s_cselect_b32 s29, -1, 0
	s_cmp_eq_u32 s28, s3
	v_cndmask_b32_e64 v2, 0, -1, vcc_lo
	s_cselect_b32 vcc_lo, -1, 0
	s_add_u32 s28, s17, 1
	s_add_u32 s30, s17, 2
	s_cmp_lg_u32 s26, 0
	v_mov_b32_e32 v3, s30
	v_cndmask_b32_e64 v1, 0, -1, s2
	s_subb_u32 s2, s27, s21
	v_cndmask_b32_e32 v2, s29, v2, vcc_lo
	s_cmp_ge_u32 s2, s3
	s_cselect_b32 s21, -1, 0
	s_cmp_eq_u32 s2, s3
	s_cselect_b32 vcc_lo, -1, 0
	s_xor_b64 s[2:3], s[24:25], s[22:23]
	v_cndmask_b32_e32 v1, s21, v1, vcc_lo
	v_cmp_ne_u32_e32 vcc_lo, 0, v2
	v_cndmask_b32_e32 v2, s28, v3, vcc_lo
	s_delay_alu instid0(VALU_DEP_3) | instskip(NEXT) | instid1(VALU_DEP_2)
	v_cmp_ne_u32_e32 vcc_lo, 0, v1
	v_cndmask_b32_e32 v1, s17, v2, vcc_lo
	s_delay_alu instid0(VALU_DEP_1) | instskip(NEXT) | instid1(VALU_DEP_1)
	v_xor_b32_e32 v1, s2, v1
	v_sub_co_u32 v3, vcc_lo, v1, s2
	s_load_b32 s24, s[0:1], 0x3c
	s_and_not1_b32 vcc_lo, exec_lo, s20
	s_cbranch_vccnz .LBB5_6
.LBB5_5:
	v_cvt_f32_u32_e32 v1, s12
	s_sub_i32 s2, 0, s12
	s_delay_alu instid0(VALU_DEP_1) | instskip(SKIP_2) | instid1(VALU_DEP_1)
	v_rcp_iflag_f32_e32 v1, v1
	s_waitcnt_depctr 0xfff
	v_mul_f32_e32 v1, 0x4f7ffffe, v1
	v_cvt_u32_f32_e32 v1, v1
	s_delay_alu instid0(VALU_DEP_1) | instskip(NEXT) | instid1(VALU_DEP_1)
	v_mul_lo_u32 v2, s2, v1
	v_mul_hi_u32 v2, v1, v2
	s_delay_alu instid0(VALU_DEP_1) | instskip(NEXT) | instid1(VALU_DEP_1)
	v_add_nc_u32_e32 v1, v1, v2
	v_mul_hi_u32 v1, s18, v1
	s_delay_alu instid0(VALU_DEP_1) | instskip(SKIP_1) | instid1(VALU_DEP_2)
	v_mul_lo_u32 v2, v1, s12
	v_add_nc_u32_e32 v3, 1, v1
	v_sub_nc_u32_e32 v2, s18, v2
	s_delay_alu instid0(VALU_DEP_1) | instskip(SKIP_1) | instid1(VALU_DEP_2)
	v_subrev_nc_u32_e32 v4, s12, v2
	v_cmp_le_u32_e32 vcc_lo, s12, v2
	v_dual_cndmask_b32 v2, v2, v4 :: v_dual_cndmask_b32 v1, v1, v3
	s_delay_alu instid0(VALU_DEP_1) | instskip(NEXT) | instid1(VALU_DEP_2)
	v_cmp_le_u32_e32 vcc_lo, s12, v2
	v_add_nc_u32_e32 v3, 1, v1
	s_delay_alu instid0(VALU_DEP_1)
	v_cndmask_b32_e32 v3, v1, v3, vcc_lo
.LBB5_6:
	v_bfe_u32 v4, v0, 10, 10
	s_waitcnt lgkmcnt(0)
	s_lshr_b32 s22, s24, 16
	s_mov_b32 s2, exec_lo
	s_delay_alu instid0(VALU_DEP_1) | instskip(NEXT) | instid1(VALU_DEP_1)
	v_mad_u64_u32 v[1:2], null, s15, s22, v[4:5]
	v_cmpx_gt_i32_e64 s8, v1
	s_cbranch_execz .LBB5_46
; %bb.7:
	s_add_u32 s2, s18, s14
	s_addc_u32 s3, s19, s7
	s_add_u32 s14, s2, -1
	s_addc_u32 s15, s3, -1
	s_delay_alu instid0(SALU_CYCLE_1) | instskip(SKIP_1) | instid1(SALU_CYCLE_1)
	s_or_b64 s[18:19], s[14:15], s[12:13]
	s_mov_b32 s18, 0
	s_cmp_lg_u64 s[18:19], 0
	s_cbranch_scc0 .LBB5_49
; %bb.8:
	s_add_u32 s2, s12, s13
	s_mov_b32 s20, s13
	s_mov_b32 s21, s13
	s_addc_u32 s3, s13, s13
	s_delay_alu instid0(SALU_CYCLE_1) | instskip(NEXT) | instid1(SALU_CYCLE_1)
	s_xor_b64 s[2:3], s[2:3], s[20:21]
	v_cvt_f32_u32_e32 v2, s2
	v_cvt_f32_u32_e32 v4, s3
	s_sub_u32 s17, 0, s2
	s_subb_u32 s19, 0, s3
	s_delay_alu instid0(VALU_DEP_1) | instskip(NEXT) | instid1(VALU_DEP_1)
	v_fmamk_f32 v2, v4, 0x4f800000, v2
	v_rcp_f32_e32 v2, v2
	s_waitcnt_depctr 0xfff
	v_mul_f32_e32 v2, 0x5f7ffffc, v2
	s_delay_alu instid0(VALU_DEP_1) | instskip(NEXT) | instid1(VALU_DEP_1)
	v_mul_f32_e32 v4, 0x2f800000, v2
	v_trunc_f32_e32 v4, v4
	s_delay_alu instid0(VALU_DEP_1) | instskip(SKIP_1) | instid1(VALU_DEP_2)
	v_fmamk_f32 v2, v4, 0xcf800000, v2
	v_cvt_u32_f32_e32 v4, v4
	v_cvt_u32_f32_e32 v2, v2
	s_delay_alu instid0(VALU_DEP_2) | instskip(NEXT) | instid1(VALU_DEP_2)
	v_readfirstlane_b32 s7, v4
	v_readfirstlane_b32 s13, v2
	s_delay_alu instid0(VALU_DEP_2) | instskip(NEXT) | instid1(VALU_DEP_1)
	s_mul_i32 s23, s17, s7
	s_mul_hi_u32 s26, s17, s13
	s_mul_i32 s25, s19, s13
	s_add_i32 s23, s26, s23
	s_mul_i32 s27, s17, s13
	s_add_i32 s23, s23, s25
	s_mul_hi_u32 s26, s13, s27
	s_mul_hi_u32 s28, s7, s27
	s_mul_i32 s25, s7, s27
	s_mul_hi_u32 s27, s13, s23
	s_mul_i32 s13, s13, s23
	s_mul_hi_u32 s29, s7, s23
	s_add_u32 s13, s26, s13
	s_addc_u32 s26, 0, s27
	s_add_u32 s13, s13, s25
	s_mul_i32 s23, s7, s23
	s_addc_u32 s13, s26, s28
	s_addc_u32 s25, s29, 0
	s_add_u32 s13, s13, s23
	s_addc_u32 s23, 0, s25
	v_add_co_u32 v2, s13, v2, s13
	s_delay_alu instid0(VALU_DEP_1) | instskip(SKIP_1) | instid1(VALU_DEP_1)
	s_cmp_lg_u32 s13, 0
	s_addc_u32 s7, s7, s23
	v_readfirstlane_b32 s13, v2
	s_mul_i32 s23, s17, s7
	s_delay_alu instid0(VALU_DEP_1)
	s_mul_hi_u32 s25, s17, s13
	s_mul_i32 s19, s19, s13
	s_add_i32 s23, s25, s23
	s_mul_i32 s17, s17, s13
	s_add_i32 s23, s23, s19
	s_mul_hi_u32 s25, s7, s17
	s_mul_i32 s26, s7, s17
	s_mul_hi_u32 s17, s13, s17
	s_mul_hi_u32 s27, s13, s23
	s_mul_i32 s13, s13, s23
	s_mul_hi_u32 s19, s7, s23
	s_add_u32 s13, s17, s13
	s_addc_u32 s17, 0, s27
	s_add_u32 s13, s13, s26
	s_mul_i32 s23, s7, s23
	s_addc_u32 s13, s17, s25
	s_addc_u32 s17, s19, 0
	s_add_u32 s13, s13, s23
	s_addc_u32 s17, 0, s17
	v_add_co_u32 v2, s13, v2, s13
	s_delay_alu instid0(VALU_DEP_1) | instskip(SKIP_2) | instid1(VALU_DEP_1)
	s_cmp_lg_u32 s13, 0
	s_addc_u32 s7, s7, s17
	s_ashr_i32 s26, s15, 31
	v_readfirstlane_b32 s13, v2
	s_add_u32 s28, s14, s26
	s_mov_b32 s27, s26
	s_addc_u32 s29, s15, s26
	s_delay_alu instid0(SALU_CYCLE_1) | instskip(NEXT) | instid1(SALU_CYCLE_1)
	s_xor_b64 s[28:29], s[28:29], s[26:27]
	s_mul_i32 s17, s28, s7
	s_mul_hi_u32 s19, s28, s13
	s_mul_hi_u32 s15, s28, s7
	;; [unrolled: 1-line block ×3, first 2 shown]
	s_mul_i32 s13, s29, s13
	s_add_u32 s17, s19, s17
	s_addc_u32 s15, 0, s15
	s_mul_hi_u32 s23, s29, s7
	s_add_u32 s13, s17, s13
	s_mul_i32 s7, s29, s7
	s_addc_u32 s13, s15, s25
	s_addc_u32 s15, s23, 0
	s_add_u32 s7, s13, s7
	s_addc_u32 s13, 0, s15
	s_mul_hi_u32 s15, s2, s7
	s_mul_i32 s13, s2, s13
	s_mul_i32 s19, s2, s7
	s_mul_i32 s17, s3, s7
	s_add_i32 s13, s15, s13
	v_sub_co_u32 v2, s15, s28, s19
	s_add_i32 s13, s13, s17
	s_delay_alu instid0(SALU_CYCLE_1) | instskip(SKIP_1) | instid1(VALU_DEP_1)
	s_sub_i32 s17, s29, s13
	s_cmp_lg_u32 s15, 0
	v_sub_co_u32 v4, s19, v2, s2
	s_subb_u32 s17, s17, s3
	s_cmp_lg_u32 s19, 0
	s_subb_u32 s17, s17, 0
	s_delay_alu instid0(VALU_DEP_1)
	v_cmp_le_u32_e32 vcc_lo, s2, v4
	s_cmp_ge_u32 s17, s3
	v_cmp_le_u32_e64 s2, s2, v2
	s_cselect_b32 s19, -1, 0
	s_cmp_eq_u32 s17, s3
	v_cndmask_b32_e64 v4, 0, -1, vcc_lo
	s_cselect_b32 vcc_lo, -1, 0
	s_add_u32 s17, s7, 1
	s_add_u32 s23, s7, 2
	s_cmp_lg_u32 s15, 0
	v_mov_b32_e32 v5, s23
	v_cndmask_b32_e64 v2, 0, -1, s2
	s_subb_u32 s2, s29, s13
	v_cndmask_b32_e32 v4, s19, v4, vcc_lo
	s_cmp_ge_u32 s2, s3
	s_cselect_b32 s13, -1, 0
	s_cmp_eq_u32 s2, s3
	s_cselect_b32 vcc_lo, -1, 0
	s_xor_b64 s[2:3], s[26:27], s[20:21]
	v_cndmask_b32_e32 v2, s13, v2, vcc_lo
	v_cmp_ne_u32_e32 vcc_lo, 0, v4
	v_cndmask_b32_e32 v4, s17, v5, vcc_lo
	s_delay_alu instid0(VALU_DEP_3) | instskip(NEXT) | instid1(VALU_DEP_2)
	v_cmp_ne_u32_e32 vcc_lo, 0, v2
	v_cndmask_b32_e32 v2, s7, v4, vcc_lo
	s_delay_alu instid0(VALU_DEP_1) | instskip(NEXT) | instid1(VALU_DEP_1)
	v_xor_b32_e32 v2, s2, v2
	v_sub_co_u32 v4, vcc_lo, v2, s2
	s_load_b32 s20, s[0:1], 0x34
	s_and_not1_b32 vcc_lo, exec_lo, s18
	s_cbranch_vccnz .LBB5_10
.LBB5_9:
	v_cvt_f32_u32_e32 v2, s12
	s_sub_i32 s2, 0, s12
	s_delay_alu instid0(VALU_DEP_1) | instskip(SKIP_2) | instid1(VALU_DEP_1)
	v_rcp_iflag_f32_e32 v2, v2
	s_waitcnt_depctr 0xfff
	v_mul_f32_e32 v2, 0x4f7ffffe, v2
	v_cvt_u32_f32_e32 v2, v2
	s_delay_alu instid0(VALU_DEP_1) | instskip(NEXT) | instid1(VALU_DEP_1)
	v_mul_lo_u32 v4, s2, v2
	v_mul_hi_u32 v4, v2, v4
	s_delay_alu instid0(VALU_DEP_1) | instskip(NEXT) | instid1(VALU_DEP_1)
	v_add_nc_u32_e32 v2, v2, v4
	v_mul_hi_u32 v2, s14, v2
	s_delay_alu instid0(VALU_DEP_1) | instskip(SKIP_1) | instid1(VALU_DEP_2)
	v_mul_lo_u32 v4, v2, s12
	v_add_nc_u32_e32 v5, 1, v2
	v_sub_nc_u32_e32 v4, s14, v4
	s_delay_alu instid0(VALU_DEP_1) | instskip(SKIP_1) | instid1(VALU_DEP_2)
	v_subrev_nc_u32_e32 v6, s12, v4
	v_cmp_le_u32_e32 vcc_lo, s12, v4
	v_cndmask_b32_e32 v4, v4, v6, vcc_lo
	v_cndmask_b32_e32 v2, v2, v5, vcc_lo
	s_delay_alu instid0(VALU_DEP_2) | instskip(NEXT) | instid1(VALU_DEP_2)
	v_cmp_le_u32_e32 vcc_lo, s12, v4
	v_add_nc_u32_e32 v5, 1, v2
	s_delay_alu instid0(VALU_DEP_1)
	v_cndmask_b32_e32 v4, v2, v5, vcc_lo
.LBB5_10:
	s_load_b128 s[12:15], s[0:1], 0x0
	s_mul_i32 s0, s9, s8
	s_mul_i32 s3, s16, s4
	s_mul_hi_i32 s1, s9, s8
	s_mul_i32 s4, s0, s11
	s_mul_hi_u32 s11, s0, s10
	s_mul_i32 s1, s1, s10
	s_add_i32 s4, s11, s4
	s_mul_i32 s0, s0, s10
	s_add_i32 s1, s4, s1
	s_ashr_i32 s7, s8, 31
	s_lshl_b64 s[0:1], s[0:1], 2
	s_ashr_i32 s17, s9, 31
	s_waitcnt lgkmcnt(0)
	s_mul_i32 s20, s20, s22
	v_sub_nc_u32_e32 v7, v4, v3
	s_mov_b32 s16, s8
	s_mul_i32 s2, s6, s5
	v_cvt_f32_u32_e32 v6, s16
	v_and_b32_e32 v0, 0x3ff, v0
	s_mov_b32 s18, s9
	s_add_u32 s14, s14, s0
	s_addc_u32 s15, s15, s1
	s_ashr_i32 s19, s8, 31
	s_abs_i32 s21, s9
	s_add_i32 s0, s8, s19
	v_cvt_f32_u32_e32 v2, s21
	s_xor_b32 s22, s0, s19
	v_cmp_gt_u32_e64 s1, 0x7fffffff, v7
	v_cvt_f32_u32_e32 v5, s22
	s_sub_i32 s4, 0, s21
	v_rcp_iflag_f32_e32 v2, v2
	v_add_nc_u32_e32 v3, s3, v3
	s_sub_i32 s10, 0, s22
	v_rcp_iflag_f32_e32 v5, v5
	v_add_nc_u32_e32 v8, 1, v7
	v_rcp_iflag_f32_e32 v6, v6
	s_sub_i32 s3, 0, s8
	s_mov_b32 s23, s5
	s_and_b32 s24, s24, 0xffff
	s_ashr_i32 s25, s5, 31
	v_mul_f32_e32 v2, 0x4f7ffffe, v2
	v_mul_lo_u32 v4, s2, v3
	v_mov_b32_e32 v3, 0
	s_waitcnt_depctr 0xfff
	v_mul_f32_e32 v7, 0x4f7ffffe, v5
	v_cvt_f32_i32_e32 v10, v8
	v_cvt_u32_f32_e32 v2, v2
	v_max_i32_e32 v11, 1, v8
	v_cmp_gt_i32_e64 s0, s9, v0
	v_cvt_u32_f32_e32 v7, v7
	v_ashrrev_i32_e32 v5, 31, v4
	v_mul_lo_u32 v9, s4, v2
	s_ashr_i32 s26, s6, 31
	s_mov_b32 s27, 0
	v_mul_lo_u32 v12, s10, v7
	v_lshlrev_b64 v[4:5], 2, v[4:5]
	s_delay_alu instid0(VALU_DEP_3) | instskip(NEXT) | instid1(VALU_DEP_3)
	v_mul_hi_u32 v8, v2, v9
	v_mul_hi_u32 v9, v7, v12
	v_mul_f32_e32 v6, 0x4f7ffffe, v6
	s_delay_alu instid0(VALU_DEP_4) | instskip(NEXT) | instid1(VALU_DEP_4)
	v_add_co_u32 v12, vcc_lo, s12, v4
	v_add_nc_u32_e32 v14, v2, v8
	s_delay_alu instid0(VALU_DEP_4) | instskip(NEXT) | instid1(VALU_DEP_4)
	v_add_nc_u32_e32 v15, v7, v9
	v_cvt_u32_f32_e32 v6, v6
	s_delay_alu instid0(VALU_DEP_1) | instskip(SKIP_1) | instid1(SALU_CYCLE_1)
	v_mul_lo_u32 v13, s3, v6
	s_ashr_i32 s3, s2, 31
	s_lshl_b64 s[10:11], s[2:3], 2
	s_delay_alu instid0(VALU_DEP_1) | instskip(SKIP_1) | instid1(VALU_DEP_2)
	v_mul_hi_u32 v16, v6, v13
	v_add_co_ci_u32_e32 v13, vcc_lo, s13, v5, vcc_lo
	v_add_nc_u32_e32 v16, v6, v16
	s_branch .LBB5_12
.LBB5_11:                               ;   in Loop: Header=BB5_12 Depth=1
	s_or_b32 exec_lo, exec_lo, s28
	v_add_nc_u32_e32 v1, s20, v1
	s_delay_alu instid0(VALU_DEP_1) | instskip(SKIP_1) | instid1(SALU_CYCLE_1)
	v_cmp_le_i32_e32 vcc_lo, s8, v1
	s_or_b32 s27, vcc_lo, s27
	s_and_not1_b32 exec_lo, exec_lo, s27
	s_cbranch_execz .LBB5_46
.LBB5_12:                               ; =>This Loop Header: Depth=1
                                        ;     Child Loop BB5_27 Depth 2
                                        ;       Child Loop BB5_38 Depth 3
                                        ;         Child Loop BB5_41 Depth 4
                                        ;           Child Loop BB5_43 Depth 5
                                        ;             Child Loop BB5_44 Depth 6
	v_ashrrev_i32_e32 v9, 31, v1
	v_mov_b32_e32 v4, v3
	s_delay_alu instid0(VALU_DEP_2) | instskip(NEXT) | instid1(VALU_DEP_1)
	v_or_b32_e32 v5, s7, v9
	v_cmp_ne_u64_e32 vcc_lo, 0, v[4:5]
                                        ; implicit-def: $vgpr4_vgpr5
	s_and_saveexec_b32 s2, vcc_lo
	s_delay_alu instid0(SALU_CYCLE_1)
	s_xor_b32 s2, exec_lo, s2
	s_cbranch_execz .LBB5_14
; %bb.13:                               ;   in Loop: Header=BB5_12 Depth=1
	v_ashrrev_i32_e32 v2, 31, v1
	s_delay_alu instid0(VALU_DEP_1) | instskip(NEXT) | instid1(VALU_DEP_1)
	v_add_nc_u32_e32 v4, v1, v2
	v_xor_b32_e32 v4, v4, v2
	v_xor_b32_e32 v2, s19, v2
	s_delay_alu instid0(VALU_DEP_2) | instskip(NEXT) | instid1(VALU_DEP_1)
	v_mul_hi_u32 v5, v4, v15
	v_mul_lo_u32 v6, v5, s22
	s_delay_alu instid0(VALU_DEP_1) | instskip(SKIP_1) | instid1(VALU_DEP_2)
	v_sub_nc_u32_e32 v4, v4, v6
	v_add_nc_u32_e32 v6, 1, v5
	v_subrev_nc_u32_e32 v7, s22, v4
	v_cmp_le_u32_e32 vcc_lo, s22, v4
	s_delay_alu instid0(VALU_DEP_2) | instskip(NEXT) | instid1(VALU_DEP_1)
	v_dual_cndmask_b32 v4, v4, v7 :: v_dual_cndmask_b32 v5, v5, v6
	v_cmp_le_u32_e32 vcc_lo, s22, v4
	s_delay_alu instid0(VALU_DEP_2) | instskip(NEXT) | instid1(VALU_DEP_1)
	v_add_nc_u32_e32 v6, 1, v5
	v_cndmask_b32_e32 v4, v5, v6, vcc_lo
	s_delay_alu instid0(VALU_DEP_1) | instskip(NEXT) | instid1(VALU_DEP_1)
	v_xor_b32_e32 v4, v4, v2
	v_sub_nc_u32_e32 v4, v4, v2
	s_delay_alu instid0(VALU_DEP_1)
	v_ashrrev_i32_e32 v5, 31, v4
.LBB5_14:                               ;   in Loop: Header=BB5_12 Depth=1
	s_and_not1_saveexec_b32 s2, s2
	s_cbranch_execz .LBB5_16
; %bb.15:                               ;   in Loop: Header=BB5_12 Depth=1
	v_mul_hi_u32 v2, v1, v16
	s_delay_alu instid0(VALU_DEP_1) | instskip(SKIP_1) | instid1(VALU_DEP_2)
	v_mul_lo_u32 v4, v2, s16
	v_add_nc_u32_e32 v5, 1, v2
	v_sub_nc_u32_e32 v4, v1, v4
	s_delay_alu instid0(VALU_DEP_1) | instskip(SKIP_1) | instid1(VALU_DEP_2)
	v_subrev_nc_u32_e32 v6, s16, v4
	v_cmp_le_u32_e32 vcc_lo, s16, v4
	v_cndmask_b32_e32 v4, v4, v6, vcc_lo
	v_cndmask_b32_e32 v2, v2, v5, vcc_lo
	s_delay_alu instid0(VALU_DEP_2) | instskip(NEXT) | instid1(VALU_DEP_2)
	v_cmp_le_u32_e32 vcc_lo, s16, v4
	v_add_nc_u32_e32 v5, 1, v2
	s_delay_alu instid0(VALU_DEP_1) | instskip(NEXT) | instid1(VALU_DEP_1)
	v_cndmask_b32_e32 v2, v2, v5, vcc_lo
	v_dual_mov_b32 v5, v3 :: v_dual_mov_b32 v4, v2
.LBB5_16:                               ;   in Loop: Header=BB5_12 Depth=1
	s_or_b32 exec_lo, exec_lo, s2
	s_delay_alu instid0(VALU_DEP_1) | instskip(NEXT) | instid1(VALU_DEP_2)
	v_mul_lo_u32 v2, v5, s16
	v_mul_lo_u32 v7, v4, s7
	v_mad_u64_u32 v[5:6], null, v4, s16, 0
	s_delay_alu instid0(VALU_DEP_1) | instskip(NEXT) | instid1(VALU_DEP_2)
	v_add3_u32 v2, v6, v7, v2
	v_sub_co_u32 v5, vcc_lo, v1, v5
	s_delay_alu instid0(VALU_DEP_2) | instskip(NEXT) | instid1(VALU_DEP_2)
	v_sub_co_ci_u32_e32 v2, vcc_lo, v9, v2, vcc_lo
	v_mul_lo_u32 v6, v5, s25
	v_mad_u64_u32 v[7:8], null, v5, s23, 0
	s_delay_alu instid0(VALU_DEP_3) | instskip(SKIP_1) | instid1(VALU_DEP_2)
	v_mul_lo_u32 v2, v2, s23
	v_mov_b32_e32 v5, v3
	v_add3_u32 v8, v8, v6, v2
	s_delay_alu instid0(VALU_DEP_1) | instskip(NEXT) | instid1(VALU_DEP_1)
	v_or_b32_e32 v6, s7, v8
	v_cmp_ne_u64_e32 vcc_lo, 0, v[5:6]
                                        ; implicit-def: $vgpr5_vgpr6
	s_and_saveexec_b32 s2, vcc_lo
	s_delay_alu instid0(SALU_CYCLE_1)
	s_xor_b32 s3, exec_lo, s2
	s_cbranch_execz .LBB5_18
; %bb.17:                               ;   in Loop: Header=BB5_12 Depth=1
	s_add_u32 s12, s16, s7
	s_mov_b32 s4, s7
	s_mov_b32 s5, s7
	s_addc_u32 s13, s7, s7
	s_delay_alu instid0(SALU_CYCLE_1) | instskip(NEXT) | instid1(SALU_CYCLE_1)
	s_xor_b64 s[12:13], s[12:13], s[4:5]
	v_cvt_f32_u32_e32 v2, s12
	v_cvt_f32_u32_e32 v5, s13
	s_sub_u32 s2, 0, s12
	s_subb_u32 s5, 0, s13
	s_delay_alu instid0(VALU_DEP_1) | instskip(NEXT) | instid1(VALU_DEP_1)
	v_fmac_f32_e32 v2, 0x4f800000, v5
	v_rcp_f32_e32 v2, v2
	s_waitcnt_depctr 0xfff
	v_mul_f32_e32 v2, 0x5f7ffffc, v2
	s_delay_alu instid0(VALU_DEP_1) | instskip(NEXT) | instid1(VALU_DEP_1)
	v_mul_f32_e32 v5, 0x2f800000, v2
	v_trunc_f32_e32 v5, v5
	s_delay_alu instid0(VALU_DEP_1) | instskip(SKIP_1) | instid1(VALU_DEP_2)
	v_fmac_f32_e32 v2, 0xcf800000, v5
	v_cvt_u32_f32_e32 v5, v5
	v_cvt_u32_f32_e32 v2, v2
	s_delay_alu instid0(VALU_DEP_2) | instskip(NEXT) | instid1(VALU_DEP_2)
	v_mul_lo_u32 v6, s2, v5
	v_mul_hi_u32 v17, s2, v2
	v_mul_lo_u32 v18, s5, v2
	s_delay_alu instid0(VALU_DEP_2) | instskip(SKIP_1) | instid1(VALU_DEP_2)
	v_add_nc_u32_e32 v6, v17, v6
	v_mul_lo_u32 v17, s2, v2
	v_add_nc_u32_e32 v6, v6, v18
	s_delay_alu instid0(VALU_DEP_2) | instskip(NEXT) | instid1(VALU_DEP_2)
	v_mul_hi_u32 v18, v2, v17
	v_mul_lo_u32 v19, v2, v6
	v_mul_hi_u32 v20, v2, v6
	v_mul_hi_u32 v21, v5, v17
	v_mul_lo_u32 v17, v5, v17
	v_mul_hi_u32 v22, v5, v6
	v_mul_lo_u32 v6, v5, v6
	v_add_co_u32 v18, vcc_lo, v18, v19
	v_add_co_ci_u32_e32 v19, vcc_lo, 0, v20, vcc_lo
	s_delay_alu instid0(VALU_DEP_2) | instskip(NEXT) | instid1(VALU_DEP_2)
	v_add_co_u32 v17, vcc_lo, v18, v17
	v_add_co_ci_u32_e32 v17, vcc_lo, v19, v21, vcc_lo
	v_add_co_ci_u32_e32 v18, vcc_lo, 0, v22, vcc_lo
	v_ashrrev_i32_e32 v21, 31, v8
	s_delay_alu instid0(VALU_DEP_3) | instskip(NEXT) | instid1(VALU_DEP_3)
	v_add_co_u32 v6, vcc_lo, v17, v6
	v_add_co_ci_u32_e32 v17, vcc_lo, 0, v18, vcc_lo
	s_delay_alu instid0(VALU_DEP_2) | instskip(NEXT) | instid1(VALU_DEP_2)
	v_add_co_u32 v2, vcc_lo, v2, v6
	v_add_co_ci_u32_e32 v5, vcc_lo, v5, v17, vcc_lo
	s_delay_alu instid0(VALU_DEP_2) | instskip(SKIP_1) | instid1(VALU_DEP_3)
	v_mul_hi_u32 v6, s2, v2
	v_mul_lo_u32 v18, s5, v2
	v_mul_lo_u32 v17, s2, v5
	s_delay_alu instid0(VALU_DEP_1) | instskip(SKIP_1) | instid1(VALU_DEP_2)
	v_add_nc_u32_e32 v6, v6, v17
	v_mul_lo_u32 v17, s2, v2
	v_add_nc_u32_e32 v6, v6, v18
	s_delay_alu instid0(VALU_DEP_2) | instskip(NEXT) | instid1(VALU_DEP_2)
	v_mul_hi_u32 v18, v2, v17
	v_mul_lo_u32 v19, v2, v6
	v_mul_hi_u32 v20, v2, v6
	v_mul_hi_u32 v22, v5, v17
	v_mul_lo_u32 v17, v5, v17
	v_mul_hi_u32 v23, v5, v6
	v_mul_lo_u32 v6, v5, v6
	v_add_co_u32 v18, vcc_lo, v18, v19
	v_add_co_ci_u32_e32 v19, vcc_lo, 0, v20, vcc_lo
	s_delay_alu instid0(VALU_DEP_2) | instskip(NEXT) | instid1(VALU_DEP_2)
	v_add_co_u32 v17, vcc_lo, v18, v17
	v_add_co_ci_u32_e32 v17, vcc_lo, v19, v22, vcc_lo
	v_add_co_ci_u32_e32 v18, vcc_lo, 0, v23, vcc_lo
	v_add_co_u32 v7, vcc_lo, v7, v21
	v_add_co_ci_u32_e32 v8, vcc_lo, v8, v21, vcc_lo
	s_delay_alu instid0(VALU_DEP_4) | instskip(NEXT) | instid1(VALU_DEP_4)
	v_add_co_u32 v6, vcc_lo, v17, v6
	v_add_co_ci_u32_e32 v17, vcc_lo, 0, v18, vcc_lo
	s_delay_alu instid0(VALU_DEP_4) | instskip(NEXT) | instid1(VALU_DEP_3)
	v_xor_b32_e32 v19, v7, v21
	v_add_co_u32 v2, vcc_lo, v2, v6
	s_delay_alu instid0(VALU_DEP_3) | instskip(SKIP_1) | instid1(VALU_DEP_3)
	v_add_co_ci_u32_e32 v20, vcc_lo, v5, v17, vcc_lo
	v_xor_b32_e32 v22, v8, v21
	v_mul_hi_u32 v23, v19, v2
	s_delay_alu instid0(VALU_DEP_3) | instskip(NEXT) | instid1(VALU_DEP_3)
	v_mad_u64_u32 v[5:6], null, v19, v20, 0
	v_mad_u64_u32 v[7:8], null, v22, v2, 0
	;; [unrolled: 1-line block ×3, first 2 shown]
	s_delay_alu instid0(VALU_DEP_3) | instskip(NEXT) | instid1(VALU_DEP_4)
	v_add_co_u32 v2, vcc_lo, v23, v5
	v_add_co_ci_u32_e32 v5, vcc_lo, 0, v6, vcc_lo
	s_delay_alu instid0(VALU_DEP_2) | instskip(NEXT) | instid1(VALU_DEP_2)
	v_add_co_u32 v2, vcc_lo, v2, v7
	v_add_co_ci_u32_e32 v2, vcc_lo, v5, v8, vcc_lo
	v_add_co_ci_u32_e32 v5, vcc_lo, 0, v18, vcc_lo
	s_delay_alu instid0(VALU_DEP_2) | instskip(NEXT) | instid1(VALU_DEP_2)
	v_add_co_u32 v2, vcc_lo, v2, v17
	v_add_co_ci_u32_e32 v7, vcc_lo, 0, v5, vcc_lo
	s_delay_alu instid0(VALU_DEP_2) | instskip(SKIP_1) | instid1(VALU_DEP_3)
	v_mul_lo_u32 v8, s13, v2
	v_mad_u64_u32 v[5:6], null, s12, v2, 0
	v_mul_lo_u32 v7, s12, v7
	s_delay_alu instid0(VALU_DEP_2) | instskip(NEXT) | instid1(VALU_DEP_2)
	v_sub_co_u32 v5, vcc_lo, v19, v5
	v_add3_u32 v6, v6, v7, v8
	v_add_co_u32 v8, s2, v2, 2
	s_delay_alu instid0(VALU_DEP_2) | instskip(NEXT) | instid1(VALU_DEP_1)
	v_sub_nc_u32_e32 v7, v22, v6
	v_subrev_co_ci_u32_e64 v7, s2, s13, v7, vcc_lo
	v_sub_co_u32 v17, s2, v5, s12
	v_sub_co_ci_u32_e32 v6, vcc_lo, v22, v6, vcc_lo
	s_delay_alu instid0(VALU_DEP_3) | instskip(NEXT) | instid1(VALU_DEP_3)
	v_subrev_co_ci_u32_e64 v7, s2, 0, v7, s2
	v_cmp_le_u32_e32 vcc_lo, s12, v17
	v_cndmask_b32_e64 v17, 0, -1, vcc_lo
	s_delay_alu instid0(VALU_DEP_3)
	v_cmp_le_u32_e32 vcc_lo, s13, v7
	v_cndmask_b32_e64 v18, 0, -1, vcc_lo
	v_cmp_le_u32_e32 vcc_lo, s12, v5
	v_cndmask_b32_e64 v5, 0, -1, vcc_lo
	v_cmp_le_u32_e32 vcc_lo, s13, v6
	v_cndmask_b32_e64 v19, 0, -1, vcc_lo
	v_cmp_eq_u32_e32 vcc_lo, s13, v7
	v_cndmask_b32_e32 v7, v18, v17, vcc_lo
	v_add_co_u32 v17, vcc_lo, v2, 1
	v_cmp_eq_u32_e32 vcc_lo, s13, v6
	v_cndmask_b32_e32 v5, v19, v5, vcc_lo
	s_delay_alu instid0(VALU_DEP_4) | instskip(NEXT) | instid1(VALU_DEP_4)
	v_cmp_ne_u32_e32 vcc_lo, 0, v7
	v_cndmask_b32_e32 v6, v17, v8, vcc_lo
	s_delay_alu instid0(VALU_DEP_3) | instskip(SKIP_1) | instid1(VALU_DEP_3)
	v_cmp_ne_u32_e32 vcc_lo, 0, v5
	v_xor_b32_e32 v5, s4, v21
                                        ; implicit-def: $vgpr7_vgpr8
	v_cndmask_b32_e32 v2, v2, v6, vcc_lo
	s_delay_alu instid0(VALU_DEP_1) | instskip(NEXT) | instid1(VALU_DEP_1)
	v_xor_b32_e32 v2, v2, v5
	v_sub_co_u32 v5, vcc_lo, v2, v5
.LBB5_18:                               ;   in Loop: Header=BB5_12 Depth=1
	s_and_not1_saveexec_b32 s2, s3
; %bb.19:                               ;   in Loop: Header=BB5_12 Depth=1
	v_mul_hi_u32 v2, v7, v16
	s_delay_alu instid0(VALU_DEP_1) | instskip(NEXT) | instid1(VALU_DEP_1)
	v_mul_lo_u32 v5, v2, s16
	v_sub_nc_u32_e32 v5, v7, v5
	s_delay_alu instid0(VALU_DEP_1) | instskip(SKIP_1) | instid1(VALU_DEP_2)
	v_subrev_nc_u32_e32 v7, s16, v5
	v_cmp_le_u32_e32 vcc_lo, s16, v5
	v_dual_cndmask_b32 v5, v5, v7 :: v_dual_add_nc_u32 v6, 1, v2
	s_delay_alu instid0(VALU_DEP_1) | instskip(NEXT) | instid1(VALU_DEP_2)
	v_cndmask_b32_e32 v2, v2, v6, vcc_lo
	v_cmp_le_u32_e32 vcc_lo, s16, v5
	s_delay_alu instid0(VALU_DEP_2) | instskip(NEXT) | instid1(VALU_DEP_1)
	v_add_nc_u32_e32 v6, 1, v2
	v_cndmask_b32_e32 v5, v2, v6, vcc_lo
; %bb.20:                               ;   in Loop: Header=BB5_12 Depth=1
	s_or_b32 exec_lo, exec_lo, s2
	v_add_co_u32 v2, vcc_lo, v1, 1
	v_add_co_ci_u32_e32 v6, vcc_lo, 0, v9, vcc_lo
	s_delay_alu instid0(VALU_DEP_2) | instskip(NEXT) | instid1(VALU_DEP_2)
	v_mul_lo_u32 v8, v2, s25
	v_mul_lo_u32 v9, v6, s23
	v_mad_u64_u32 v[6:7], null, v2, s23, -1
	s_delay_alu instid0(VALU_DEP_1) | instskip(SKIP_1) | instid1(VALU_DEP_2)
	v_add3_u32 v7, v9, v7, v8
	v_mov_b32_e32 v8, v3
	v_or_b32_e32 v9, s7, v7
	s_delay_alu instid0(VALU_DEP_1) | instskip(SKIP_1) | instid1(SALU_CYCLE_1)
	v_cmp_ne_u64_e32 vcc_lo, 0, v[8:9]
                                        ; implicit-def: $vgpr8_vgpr9
	s_and_saveexec_b32 s2, vcc_lo
	s_xor_b32 s3, exec_lo, s2
	s_cbranch_execnz .LBB5_23
; %bb.21:                               ;   in Loop: Header=BB5_12 Depth=1
	s_and_not1_saveexec_b32 s2, s3
	s_cbranch_execnz .LBB5_24
.LBB5_22:                               ;   in Loop: Header=BB5_12 Depth=1
	s_or_b32 exec_lo, exec_lo, s2
	s_and_saveexec_b32 s28, s0
	s_cbranch_execz .LBB5_11
	s_branch .LBB5_25
.LBB5_23:                               ;   in Loop: Header=BB5_12 Depth=1
	s_add_u32 s12, s16, s7
	s_mov_b32 s4, s7
	s_mov_b32 s5, s7
	s_addc_u32 s13, s7, s7
	s_delay_alu instid0(SALU_CYCLE_1) | instskip(NEXT) | instid1(SALU_CYCLE_1)
	s_xor_b64 s[12:13], s[12:13], s[4:5]
	v_cvt_f32_u32_e32 v2, s12
	v_cvt_f32_u32_e32 v8, s13
	s_sub_u32 s2, 0, s12
	s_subb_u32 s5, 0, s13
	s_delay_alu instid0(VALU_DEP_1) | instskip(NEXT) | instid1(VALU_DEP_1)
	v_fmac_f32_e32 v2, 0x4f800000, v8
	v_rcp_f32_e32 v2, v2
	s_waitcnt_depctr 0xfff
	v_mul_f32_e32 v2, 0x5f7ffffc, v2
	s_delay_alu instid0(VALU_DEP_1) | instskip(NEXT) | instid1(VALU_DEP_1)
	v_mul_f32_e32 v8, 0x2f800000, v2
	v_trunc_f32_e32 v8, v8
	s_delay_alu instid0(VALU_DEP_1) | instskip(SKIP_1) | instid1(VALU_DEP_2)
	v_fmac_f32_e32 v2, 0xcf800000, v8
	v_cvt_u32_f32_e32 v8, v8
	v_cvt_u32_f32_e32 v2, v2
	s_delay_alu instid0(VALU_DEP_2) | instskip(NEXT) | instid1(VALU_DEP_2)
	v_mul_lo_u32 v9, s2, v8
	v_mul_hi_u32 v17, s2, v2
	v_mul_lo_u32 v18, s5, v2
	s_delay_alu instid0(VALU_DEP_2) | instskip(SKIP_1) | instid1(VALU_DEP_2)
	v_add_nc_u32_e32 v9, v17, v9
	v_mul_lo_u32 v17, s2, v2
	v_add_nc_u32_e32 v9, v9, v18
	s_delay_alu instid0(VALU_DEP_2) | instskip(NEXT) | instid1(VALU_DEP_2)
	v_mul_hi_u32 v18, v2, v17
	v_mul_lo_u32 v19, v2, v9
	v_mul_hi_u32 v20, v2, v9
	v_mul_hi_u32 v21, v8, v17
	v_mul_lo_u32 v17, v8, v17
	v_mul_hi_u32 v22, v8, v9
	v_mul_lo_u32 v9, v8, v9
	v_add_co_u32 v18, vcc_lo, v18, v19
	v_add_co_ci_u32_e32 v19, vcc_lo, 0, v20, vcc_lo
	s_delay_alu instid0(VALU_DEP_2) | instskip(NEXT) | instid1(VALU_DEP_2)
	v_add_co_u32 v17, vcc_lo, v18, v17
	v_add_co_ci_u32_e32 v17, vcc_lo, v19, v21, vcc_lo
	v_add_co_ci_u32_e32 v18, vcc_lo, 0, v22, vcc_lo
	v_ashrrev_i32_e32 v21, 31, v7
	s_delay_alu instid0(VALU_DEP_3) | instskip(NEXT) | instid1(VALU_DEP_3)
	v_add_co_u32 v9, vcc_lo, v17, v9
	v_add_co_ci_u32_e32 v17, vcc_lo, 0, v18, vcc_lo
	s_delay_alu instid0(VALU_DEP_2) | instskip(NEXT) | instid1(VALU_DEP_2)
	v_add_co_u32 v2, vcc_lo, v2, v9
	v_add_co_ci_u32_e32 v8, vcc_lo, v8, v17, vcc_lo
	s_delay_alu instid0(VALU_DEP_2) | instskip(SKIP_1) | instid1(VALU_DEP_3)
	v_mul_hi_u32 v9, s2, v2
	v_mul_lo_u32 v18, s5, v2
	v_mul_lo_u32 v17, s2, v8
	s_delay_alu instid0(VALU_DEP_1) | instskip(SKIP_1) | instid1(VALU_DEP_2)
	v_add_nc_u32_e32 v9, v9, v17
	v_mul_lo_u32 v17, s2, v2
	v_add_nc_u32_e32 v9, v9, v18
	s_delay_alu instid0(VALU_DEP_2) | instskip(NEXT) | instid1(VALU_DEP_2)
	v_mul_hi_u32 v18, v2, v17
	v_mul_lo_u32 v19, v2, v9
	v_mul_hi_u32 v20, v2, v9
	v_mul_hi_u32 v22, v8, v17
	v_mul_lo_u32 v17, v8, v17
	v_mul_hi_u32 v23, v8, v9
	v_mul_lo_u32 v9, v8, v9
	v_add_co_u32 v18, vcc_lo, v18, v19
	v_add_co_ci_u32_e32 v19, vcc_lo, 0, v20, vcc_lo
	s_delay_alu instid0(VALU_DEP_2) | instskip(NEXT) | instid1(VALU_DEP_2)
	v_add_co_u32 v17, vcc_lo, v18, v17
	v_add_co_ci_u32_e32 v17, vcc_lo, v19, v22, vcc_lo
	v_add_co_ci_u32_e32 v18, vcc_lo, 0, v23, vcc_lo
	v_add_co_u32 v6, vcc_lo, v6, v21
	v_add_co_ci_u32_e32 v7, vcc_lo, v7, v21, vcc_lo
	s_delay_alu instid0(VALU_DEP_4) | instskip(NEXT) | instid1(VALU_DEP_4)
	v_add_co_u32 v9, vcc_lo, v17, v9
	v_add_co_ci_u32_e32 v17, vcc_lo, 0, v18, vcc_lo
	s_delay_alu instid0(VALU_DEP_4) | instskip(NEXT) | instid1(VALU_DEP_3)
	v_xor_b32_e32 v19, v6, v21
	v_add_co_u32 v2, vcc_lo, v2, v9
	s_delay_alu instid0(VALU_DEP_3) | instskip(SKIP_1) | instid1(VALU_DEP_3)
	v_add_co_ci_u32_e32 v20, vcc_lo, v8, v17, vcc_lo
	v_xor_b32_e32 v22, v7, v21
	v_mul_hi_u32 v23, v19, v2
	s_delay_alu instid0(VALU_DEP_3) | instskip(NEXT) | instid1(VALU_DEP_3)
	v_mad_u64_u32 v[6:7], null, v19, v20, 0
	v_mad_u64_u32 v[8:9], null, v22, v2, 0
	;; [unrolled: 1-line block ×3, first 2 shown]
	s_delay_alu instid0(VALU_DEP_3) | instskip(NEXT) | instid1(VALU_DEP_4)
	v_add_co_u32 v2, vcc_lo, v23, v6
	v_add_co_ci_u32_e32 v6, vcc_lo, 0, v7, vcc_lo
	s_delay_alu instid0(VALU_DEP_2) | instskip(NEXT) | instid1(VALU_DEP_2)
	v_add_co_u32 v2, vcc_lo, v2, v8
	v_add_co_ci_u32_e32 v2, vcc_lo, v6, v9, vcc_lo
	v_add_co_ci_u32_e32 v6, vcc_lo, 0, v18, vcc_lo
	s_delay_alu instid0(VALU_DEP_2) | instskip(NEXT) | instid1(VALU_DEP_2)
	v_add_co_u32 v2, vcc_lo, v2, v17
	v_add_co_ci_u32_e32 v8, vcc_lo, 0, v6, vcc_lo
	s_delay_alu instid0(VALU_DEP_2) | instskip(SKIP_1) | instid1(VALU_DEP_3)
	v_mul_lo_u32 v9, s13, v2
	v_mad_u64_u32 v[6:7], null, s12, v2, 0
	v_mul_lo_u32 v8, s12, v8
	s_delay_alu instid0(VALU_DEP_2) | instskip(NEXT) | instid1(VALU_DEP_2)
	v_sub_co_u32 v6, vcc_lo, v19, v6
	v_add3_u32 v7, v7, v8, v9
	v_add_co_u32 v9, s2, v2, 2
	s_delay_alu instid0(VALU_DEP_2) | instskip(NEXT) | instid1(VALU_DEP_1)
	v_sub_nc_u32_e32 v8, v22, v7
	v_subrev_co_ci_u32_e64 v8, s2, s13, v8, vcc_lo
	v_sub_co_u32 v17, s2, v6, s12
	v_sub_co_ci_u32_e32 v7, vcc_lo, v22, v7, vcc_lo
	s_delay_alu instid0(VALU_DEP_3) | instskip(NEXT) | instid1(VALU_DEP_3)
	v_subrev_co_ci_u32_e64 v8, s2, 0, v8, s2
	v_cmp_le_u32_e32 vcc_lo, s12, v17
	v_cndmask_b32_e64 v17, 0, -1, vcc_lo
	s_delay_alu instid0(VALU_DEP_3)
	v_cmp_le_u32_e32 vcc_lo, s13, v8
	v_cndmask_b32_e64 v18, 0, -1, vcc_lo
	v_cmp_le_u32_e32 vcc_lo, s12, v6
	v_cndmask_b32_e64 v6, 0, -1, vcc_lo
	;; [unrolled: 2-line block ×3, first 2 shown]
	v_cmp_eq_u32_e32 vcc_lo, s13, v8
	v_cndmask_b32_e32 v8, v18, v17, vcc_lo
	v_add_co_u32 v17, vcc_lo, v2, 1
	v_cmp_eq_u32_e32 vcc_lo, s13, v7
	v_cndmask_b32_e32 v6, v19, v6, vcc_lo
	s_delay_alu instid0(VALU_DEP_4) | instskip(NEXT) | instid1(VALU_DEP_4)
	v_cmp_ne_u32_e32 vcc_lo, 0, v8
	v_cndmask_b32_e32 v7, v17, v9, vcc_lo
	s_delay_alu instid0(VALU_DEP_3) | instskip(SKIP_1) | instid1(VALU_DEP_3)
	v_cmp_ne_u32_e32 vcc_lo, 0, v6
	v_xor_b32_e32 v6, s4, v21
	v_cndmask_b32_e32 v2, v2, v7, vcc_lo
	s_delay_alu instid0(VALU_DEP_1) | instskip(NEXT) | instid1(VALU_DEP_1)
	v_xor_b32_e32 v2, v2, v6
	v_sub_co_u32 v8, vcc_lo, v2, v6
                                        ; implicit-def: $vgpr6_vgpr7
	s_and_not1_saveexec_b32 s2, s3
	s_cbranch_execz .LBB5_22
.LBB5_24:                               ;   in Loop: Header=BB5_12 Depth=1
	v_mul_hi_u32 v2, v6, v16
	s_delay_alu instid0(VALU_DEP_1) | instskip(NEXT) | instid1(VALU_DEP_1)
	v_mul_lo_u32 v7, v2, s16
	v_sub_nc_u32_e32 v6, v6, v7
	s_delay_alu instid0(VALU_DEP_1) | instskip(SKIP_1) | instid1(VALU_DEP_2)
	v_subrev_nc_u32_e32 v8, s16, v6
	v_cmp_le_u32_e32 vcc_lo, s16, v6
	v_dual_cndmask_b32 v6, v6, v8 :: v_dual_add_nc_u32 v7, 1, v2
	s_delay_alu instid0(VALU_DEP_1) | instskip(NEXT) | instid1(VALU_DEP_2)
	v_cndmask_b32_e32 v2, v2, v7, vcc_lo
	v_cmp_le_u32_e32 vcc_lo, s16, v6
	s_delay_alu instid0(VALU_DEP_2) | instskip(NEXT) | instid1(VALU_DEP_1)
	v_add_nc_u32_e32 v7, 1, v2
	v_cndmask_b32_e32 v8, v2, v7, vcc_lo
	s_or_b32 exec_lo, exec_lo, s2
	s_and_saveexec_b32 s28, s0
	s_cbranch_execz .LBB5_11
.LBB5_25:                               ;   in Loop: Header=BB5_12 Depth=1
	v_mad_u64_u32 v[6:7], null, v4, s23, v[5:6]
	v_mul_lo_u32 v4, v1, s9
	s_mov_b32 s29, 0
	s_delay_alu instid0(VALU_DEP_2) | instskip(SKIP_1) | instid1(VALU_DEP_3)
	v_mul_lo_u32 v7, v6, s6
	v_sub_nc_u32_e32 v2, v8, v6
	v_ashrrev_i32_e32 v5, 31, v4
	s_delay_alu instid0(VALU_DEP_2) | instskip(NEXT) | instid1(VALU_DEP_4)
	v_dual_mov_b32 v2, v0 :: v_dual_add_nc_u32 v17, 1, v2
	v_ashrrev_i32_e32 v8, 31, v7
	s_delay_alu instid0(VALU_DEP_3) | instskip(NEXT) | instid1(VALU_DEP_3)
	v_lshlrev_b64 v[4:5], 2, v[4:5]
	v_cvt_f32_i32_e32 v18, v17
	v_cmp_lt_i32_e64 s2, 0, v17
	s_delay_alu instid0(VALU_DEP_4) | instskip(NEXT) | instid1(VALU_DEP_4)
	v_lshlrev_b64 v[6:7], 2, v[7:8]
	v_add_co_u32 v19, vcc_lo, s14, v4
	v_add_co_ci_u32_e32 v20, vcc_lo, s15, v5, vcc_lo
	s_delay_alu instid0(VALU_DEP_3) | instskip(NEXT) | instid1(VALU_DEP_4)
	v_add_co_u32 v21, vcc_lo, v12, v6
	v_add_co_ci_u32_e32 v22, vcc_lo, v13, v7, vcc_lo
	s_branch .LBB5_27
.LBB5_26:                               ;   in Loop: Header=BB5_27 Depth=2
	v_add_nc_u32_e32 v2, s24, v2
	s_delay_alu instid0(VALU_DEP_1) | instskip(SKIP_1) | instid1(SALU_CYCLE_1)
	v_cmp_le_i32_e32 vcc_lo, s9, v2
	s_or_b32 s29, vcc_lo, s29
	s_and_not1_b32 exec_lo, exec_lo, s29
	s_cbranch_execz .LBB5_11
.LBB5_27:                               ;   Parent Loop BB5_12 Depth=1
                                        ; =>  This Loop Header: Depth=2
                                        ;       Child Loop BB5_38 Depth 3
                                        ;         Child Loop BB5_41 Depth 4
                                        ;           Child Loop BB5_43 Depth 5
                                        ;             Child Loop BB5_44 Depth 6
	v_mul_hi_u32 v4, v2, v14
	s_delay_alu instid0(VALU_DEP_1) | instskip(NEXT) | instid1(VALU_DEP_1)
	v_mul_lo_u32 v5, v4, s21
	v_sub_nc_u32_e32 v5, v2, v5
	s_delay_alu instid0(VALU_DEP_1) | instskip(SKIP_1) | instid1(VALU_DEP_2)
	v_subrev_nc_u32_e32 v7, s21, v5
	v_cmp_le_u32_e32 vcc_lo, s21, v5
	v_dual_cndmask_b32 v5, v5, v7 :: v_dual_add_nc_u32 v6, 1, v4
	s_delay_alu instid0(VALU_DEP_1) | instskip(NEXT) | instid1(VALU_DEP_2)
	v_cndmask_b32_e32 v4, v4, v6, vcc_lo
	v_cmp_le_u32_e32 vcc_lo, s21, v5
	s_delay_alu instid0(VALU_DEP_2) | instskip(NEXT) | instid1(VALU_DEP_1)
	v_add_nc_u32_e32 v6, 1, v4
	v_cndmask_b32_e32 v4, v4, v6, vcc_lo
	s_delay_alu instid0(VALU_DEP_1) | instskip(NEXT) | instid1(VALU_DEP_1)
	v_xor_b32_e32 v4, s17, v4
	v_subrev_nc_u32_e32 v23, s17, v4
	s_delay_alu instid0(VALU_DEP_1) | instskip(NEXT) | instid1(VALU_DEP_1)
	v_mad_i64_i32 v[4:5], null, v23, s18, 0
	v_sub_co_u32 v4, vcc_lo, v2, v4
	s_delay_alu instid0(VALU_DEP_2) | instskip(NEXT) | instid1(VALU_DEP_2)
	v_sub_co_ci_u32_e32 v5, vcc_lo, 0, v5, vcc_lo
	v_mul_lo_u32 v8, v4, s26
	v_mad_u64_u32 v[6:7], null, v4, s6, 0
	s_delay_alu instid0(VALU_DEP_3) | instskip(SKIP_1) | instid1(VALU_DEP_2)
	v_mul_lo_u32 v5, v5, s6
	v_mov_b32_e32 v4, v3
	v_add3_u32 v7, v7, v8, v5
	s_delay_alu instid0(VALU_DEP_1) | instskip(NEXT) | instid1(VALU_DEP_1)
	v_or_b32_e32 v5, s17, v7
	v_cmp_ne_u64_e32 vcc_lo, 0, v[4:5]
                                        ; implicit-def: $vgpr4_vgpr5
	s_and_saveexec_b32 s3, vcc_lo
	s_delay_alu instid0(SALU_CYCLE_1)
	s_xor_b32 s30, exec_lo, s3
	s_cbranch_execz .LBB5_29
; %bb.28:                               ;   in Loop: Header=BB5_27 Depth=2
	s_add_u32 s12, s18, s17
	s_mov_b32 s4, s17
	s_mov_b32 s5, s17
	s_addc_u32 s13, s17, s17
	s_delay_alu instid0(SALU_CYCLE_1) | instskip(NEXT) | instid1(SALU_CYCLE_1)
	s_xor_b64 s[12:13], s[12:13], s[4:5]
	v_cvt_f32_u32_e32 v4, s12
	v_cvt_f32_u32_e32 v5, s13
	s_sub_u32 s3, 0, s12
	s_subb_u32 s31, 0, s13
	s_delay_alu instid0(VALU_DEP_1) | instskip(NEXT) | instid1(VALU_DEP_1)
	v_fmac_f32_e32 v4, 0x4f800000, v5
	v_rcp_f32_e32 v4, v4
	s_waitcnt_depctr 0xfff
	v_mul_f32_e32 v4, 0x5f7ffffc, v4
	s_delay_alu instid0(VALU_DEP_1) | instskip(NEXT) | instid1(VALU_DEP_1)
	v_mul_f32_e32 v5, 0x2f800000, v4
	v_trunc_f32_e32 v5, v5
	s_delay_alu instid0(VALU_DEP_1) | instskip(SKIP_1) | instid1(VALU_DEP_2)
	v_fmac_f32_e32 v4, 0xcf800000, v5
	v_cvt_u32_f32_e32 v5, v5
	v_cvt_u32_f32_e32 v4, v4
	s_delay_alu instid0(VALU_DEP_2) | instskip(NEXT) | instid1(VALU_DEP_2)
	v_mul_lo_u32 v8, s3, v5
	v_mul_hi_u32 v9, s3, v4
	v_mul_lo_u32 v24, s31, v4
	s_delay_alu instid0(VALU_DEP_2) | instskip(SKIP_1) | instid1(VALU_DEP_2)
	v_add_nc_u32_e32 v8, v9, v8
	v_mul_lo_u32 v9, s3, v4
	v_add_nc_u32_e32 v8, v8, v24
	s_delay_alu instid0(VALU_DEP_2) | instskip(NEXT) | instid1(VALU_DEP_2)
	v_mul_hi_u32 v24, v4, v9
	v_mul_lo_u32 v25, v4, v8
	v_mul_hi_u32 v26, v4, v8
	v_mul_hi_u32 v27, v5, v9
	v_mul_lo_u32 v9, v5, v9
	v_mul_hi_u32 v28, v5, v8
	v_mul_lo_u32 v8, v5, v8
	v_add_co_u32 v24, vcc_lo, v24, v25
	v_add_co_ci_u32_e32 v25, vcc_lo, 0, v26, vcc_lo
	s_delay_alu instid0(VALU_DEP_2) | instskip(NEXT) | instid1(VALU_DEP_2)
	v_add_co_u32 v9, vcc_lo, v24, v9
	v_add_co_ci_u32_e32 v9, vcc_lo, v25, v27, vcc_lo
	v_add_co_ci_u32_e32 v24, vcc_lo, 0, v28, vcc_lo
	v_ashrrev_i32_e32 v27, 31, v7
	s_delay_alu instid0(VALU_DEP_3) | instskip(NEXT) | instid1(VALU_DEP_3)
	v_add_co_u32 v8, vcc_lo, v9, v8
	v_add_co_ci_u32_e32 v9, vcc_lo, 0, v24, vcc_lo
	s_delay_alu instid0(VALU_DEP_2) | instskip(NEXT) | instid1(VALU_DEP_2)
	v_add_co_u32 v4, vcc_lo, v4, v8
	v_add_co_ci_u32_e32 v5, vcc_lo, v5, v9, vcc_lo
	s_delay_alu instid0(VALU_DEP_2) | instskip(SKIP_1) | instid1(VALU_DEP_3)
	v_mul_hi_u32 v8, s3, v4
	v_mul_lo_u32 v24, s31, v4
	v_mul_lo_u32 v9, s3, v5
	s_delay_alu instid0(VALU_DEP_1) | instskip(SKIP_1) | instid1(VALU_DEP_2)
	v_add_nc_u32_e32 v8, v8, v9
	v_mul_lo_u32 v9, s3, v4
	v_add_nc_u32_e32 v8, v8, v24
	s_delay_alu instid0(VALU_DEP_2) | instskip(NEXT) | instid1(VALU_DEP_2)
	v_mul_hi_u32 v24, v4, v9
	v_mul_lo_u32 v25, v4, v8
	v_mul_hi_u32 v26, v4, v8
	v_mul_hi_u32 v28, v5, v9
	v_mul_lo_u32 v9, v5, v9
	v_mul_hi_u32 v29, v5, v8
	v_mul_lo_u32 v8, v5, v8
	v_add_co_u32 v24, vcc_lo, v24, v25
	v_add_co_ci_u32_e32 v25, vcc_lo, 0, v26, vcc_lo
	s_delay_alu instid0(VALU_DEP_2) | instskip(NEXT) | instid1(VALU_DEP_2)
	v_add_co_u32 v9, vcc_lo, v24, v9
	v_add_co_ci_u32_e32 v9, vcc_lo, v25, v28, vcc_lo
	v_add_co_ci_u32_e32 v24, vcc_lo, 0, v29, vcc_lo
	v_add_co_u32 v6, vcc_lo, v6, v27
	v_add_co_ci_u32_e32 v7, vcc_lo, v7, v27, vcc_lo
	s_delay_alu instid0(VALU_DEP_4) | instskip(NEXT) | instid1(VALU_DEP_4)
	v_add_co_u32 v8, vcc_lo, v9, v8
	v_add_co_ci_u32_e32 v9, vcc_lo, 0, v24, vcc_lo
	s_delay_alu instid0(VALU_DEP_4) | instskip(NEXT) | instid1(VALU_DEP_3)
	v_xor_b32_e32 v24, v6, v27
	v_add_co_u32 v8, vcc_lo, v4, v8
	s_delay_alu instid0(VALU_DEP_3) | instskip(SKIP_1) | instid1(VALU_DEP_3)
	v_add_co_ci_u32_e32 v25, vcc_lo, v5, v9, vcc_lo
	v_xor_b32_e32 v26, v7, v27
	v_mul_hi_u32 v28, v24, v8
	s_delay_alu instid0(VALU_DEP_3) | instskip(NEXT) | instid1(VALU_DEP_3)
	v_mad_u64_u32 v[4:5], null, v24, v25, 0
	v_mad_u64_u32 v[6:7], null, v26, v8, 0
	;; [unrolled: 1-line block ×3, first 2 shown]
	s_delay_alu instid0(VALU_DEP_3) | instskip(NEXT) | instid1(VALU_DEP_4)
	v_add_co_u32 v4, vcc_lo, v28, v4
	v_add_co_ci_u32_e32 v5, vcc_lo, 0, v5, vcc_lo
	s_delay_alu instid0(VALU_DEP_2) | instskip(NEXT) | instid1(VALU_DEP_2)
	v_add_co_u32 v4, vcc_lo, v4, v6
	v_add_co_ci_u32_e32 v4, vcc_lo, v5, v7, vcc_lo
	v_add_co_ci_u32_e32 v5, vcc_lo, 0, v9, vcc_lo
	s_delay_alu instid0(VALU_DEP_2) | instskip(NEXT) | instid1(VALU_DEP_2)
	v_add_co_u32 v6, vcc_lo, v4, v8
	v_add_co_ci_u32_e32 v7, vcc_lo, 0, v5, vcc_lo
	s_delay_alu instid0(VALU_DEP_2) | instskip(SKIP_1) | instid1(VALU_DEP_3)
	v_mul_lo_u32 v8, s13, v6
	v_mad_u64_u32 v[4:5], null, s12, v6, 0
	v_mul_lo_u32 v9, s12, v7
	s_delay_alu instid0(VALU_DEP_2) | instskip(NEXT) | instid1(VALU_DEP_2)
	v_sub_co_u32 v4, vcc_lo, v24, v4
	v_add3_u32 v5, v5, v9, v8
	s_delay_alu instid0(VALU_DEP_1) | instskip(NEXT) | instid1(VALU_DEP_1)
	v_sub_nc_u32_e32 v8, v26, v5
	v_subrev_co_ci_u32_e64 v8, s3, s13, v8, vcc_lo
	v_add_co_u32 v9, s3, v6, 2
	s_delay_alu instid0(VALU_DEP_1) | instskip(SKIP_3) | instid1(VALU_DEP_3)
	v_add_co_ci_u32_e64 v24, s3, 0, v7, s3
	v_sub_co_u32 v25, s3, v4, s12
	v_sub_co_ci_u32_e32 v5, vcc_lo, v26, v5, vcc_lo
	v_subrev_co_ci_u32_e64 v8, s3, 0, v8, s3
	v_cmp_le_u32_e32 vcc_lo, s12, v25
	s_delay_alu instid0(VALU_DEP_3) | instskip(SKIP_1) | instid1(VALU_DEP_4)
	v_cmp_eq_u32_e64 s3, s13, v5
	v_cndmask_b32_e64 v25, 0, -1, vcc_lo
	v_cmp_le_u32_e32 vcc_lo, s13, v8
	v_cndmask_b32_e64 v26, 0, -1, vcc_lo
	v_cmp_le_u32_e32 vcc_lo, s12, v4
	;; [unrolled: 2-line block ×3, first 2 shown]
	v_cndmask_b32_e64 v28, 0, -1, vcc_lo
	v_cmp_eq_u32_e32 vcc_lo, s13, v8
	s_delay_alu instid0(VALU_DEP_2) | instskip(SKIP_3) | instid1(VALU_DEP_3)
	v_cndmask_b32_e64 v4, v28, v4, s3
	v_cndmask_b32_e32 v8, v26, v25, vcc_lo
	v_add_co_u32 v25, vcc_lo, v6, 1
	v_add_co_ci_u32_e32 v26, vcc_lo, 0, v7, vcc_lo
	v_cmp_ne_u32_e32 vcc_lo, 0, v8
	s_delay_alu instid0(VALU_DEP_2) | instskip(SKIP_2) | instid1(VALU_DEP_3)
	v_dual_cndmask_b32 v5, v26, v24 :: v_dual_cndmask_b32 v8, v25, v9
	v_cmp_ne_u32_e32 vcc_lo, 0, v4
	v_xor_b32_e32 v4, s4, v27
	v_dual_cndmask_b32 v6, v6, v8 :: v_dual_cndmask_b32 v5, v7, v5
	v_xor_b32_e32 v7, s5, v27
	s_delay_alu instid0(VALU_DEP_2) | instskip(NEXT) | instid1(VALU_DEP_2)
	v_xor_b32_e32 v6, v6, v4
	v_xor_b32_e32 v5, v5, v7
	s_delay_alu instid0(VALU_DEP_2) | instskip(NEXT) | instid1(VALU_DEP_2)
	v_sub_co_u32 v4, vcc_lo, v6, v4
	v_sub_co_ci_u32_e32 v5, vcc_lo, v5, v7, vcc_lo
                                        ; implicit-def: $vgpr6_vgpr7
.LBB5_29:                               ;   in Loop: Header=BB5_27 Depth=2
	s_or_saveexec_b32 s3, s30
	v_cvt_f32_u32_e32 v24, s18
	s_xor_b32 exec_lo, exec_lo, s3
	s_cbranch_execz .LBB5_31
; %bb.30:                               ;   in Loop: Header=BB5_27 Depth=2
	s_delay_alu instid0(VALU_DEP_1) | instskip(SKIP_3) | instid1(VALU_DEP_1)
	v_rcp_iflag_f32_e32 v4, v24
	s_sub_i32 s4, 0, s18
	s_waitcnt_depctr 0xfff
	v_mul_f32_e32 v4, 0x4f7ffffe, v4
	v_cvt_u32_f32_e32 v4, v4
	s_delay_alu instid0(VALU_DEP_1) | instskip(NEXT) | instid1(VALU_DEP_1)
	v_mul_lo_u32 v5, s4, v4
	v_mul_hi_u32 v5, v4, v5
	s_delay_alu instid0(VALU_DEP_1) | instskip(NEXT) | instid1(VALU_DEP_1)
	v_add_nc_u32_e32 v4, v4, v5
	v_mul_hi_u32 v4, v6, v4
	s_delay_alu instid0(VALU_DEP_1) | instskip(NEXT) | instid1(VALU_DEP_1)
	v_mul_lo_u32 v5, v4, s18
	v_sub_nc_u32_e32 v5, v6, v5
	v_add_nc_u32_e32 v6, 1, v4
	s_delay_alu instid0(VALU_DEP_2) | instskip(SKIP_1) | instid1(VALU_DEP_2)
	v_subrev_nc_u32_e32 v7, s18, v5
	v_cmp_le_u32_e32 vcc_lo, s18, v5
	v_dual_cndmask_b32 v5, v5, v7 :: v_dual_cndmask_b32 v4, v4, v6
	s_delay_alu instid0(VALU_DEP_1) | instskip(NEXT) | instid1(VALU_DEP_2)
	v_cmp_le_u32_e32 vcc_lo, s18, v5
	v_dual_mov_b32 v5, v3 :: v_dual_add_nc_u32 v6, 1, v4
	s_delay_alu instid0(VALU_DEP_1)
	v_cndmask_b32_e32 v4, v4, v6, vcc_lo
.LBB5_31:                               ;   in Loop: Header=BB5_27 Depth=2
	s_or_b32 exec_lo, exec_lo, s3
	v_add_co_u32 v8, s3, v2, 1
	s_delay_alu instid0(VALU_DEP_1) | instskip(NEXT) | instid1(VALU_DEP_2)
	v_add_co_ci_u32_e64 v6, null, 0, 0, s3
	v_mul_lo_u32 v9, v8, s26
	s_delay_alu instid0(VALU_DEP_2) | instskip(SKIP_2) | instid1(VALU_DEP_2)
	v_mul_lo_u32 v25, v6, s6
	v_mad_u64_u32 v[6:7], null, v8, s6, -1
	v_mov_b32_e32 v8, v3
	v_add3_u32 v7, v25, v7, v9
	s_delay_alu instid0(VALU_DEP_1) | instskip(NEXT) | instid1(VALU_DEP_1)
	v_or_b32_e32 v9, s17, v7
	v_cmp_ne_u64_e32 vcc_lo, 0, v[8:9]
                                        ; implicit-def: $vgpr8_vgpr9
	s_and_saveexec_b32 s3, vcc_lo
	s_delay_alu instid0(SALU_CYCLE_1)
	s_xor_b32 s30, exec_lo, s3
	s_cbranch_execnz .LBB5_34
; %bb.32:                               ;   in Loop: Header=BB5_27 Depth=2
	s_and_not1_saveexec_b32 s3, s30
	s_cbranch_execnz .LBB5_35
.LBB5_33:                               ;   in Loop: Header=BB5_27 Depth=2
	s_or_b32 exec_lo, exec_lo, s3
	s_delay_alu instid0(SALU_CYCLE_1)
	s_and_not1_b32 vcc_lo, exec_lo, s1
	s_cbranch_vccnz .LBB5_26
	s_branch .LBB5_36
.LBB5_34:                               ;   in Loop: Header=BB5_27 Depth=2
	s_add_u32 s12, s18, s17
	s_mov_b32 s4, s17
	s_mov_b32 s5, s17
	s_addc_u32 s13, s17, s17
	s_delay_alu instid0(SALU_CYCLE_1) | instskip(NEXT) | instid1(SALU_CYCLE_1)
	s_xor_b64 s[12:13], s[12:13], s[4:5]
	v_cvt_f32_u32_e32 v8, s12
	v_cvt_f32_u32_e32 v9, s13
	s_sub_u32 s3, 0, s12
	s_subb_u32 s5, 0, s13
	s_delay_alu instid0(VALU_DEP_1) | instskip(NEXT) | instid1(VALU_DEP_1)
	v_fmac_f32_e32 v8, 0x4f800000, v9
	v_rcp_f32_e32 v8, v8
	s_waitcnt_depctr 0xfff
	v_mul_f32_e32 v8, 0x5f7ffffc, v8
	s_delay_alu instid0(VALU_DEP_1) | instskip(NEXT) | instid1(VALU_DEP_1)
	v_mul_f32_e32 v9, 0x2f800000, v8
	v_trunc_f32_e32 v9, v9
	s_delay_alu instid0(VALU_DEP_1) | instskip(SKIP_1) | instid1(VALU_DEP_2)
	v_fmac_f32_e32 v8, 0xcf800000, v9
	v_cvt_u32_f32_e32 v9, v9
	v_cvt_u32_f32_e32 v8, v8
	s_delay_alu instid0(VALU_DEP_2) | instskip(NEXT) | instid1(VALU_DEP_2)
	v_mul_lo_u32 v24, s3, v9
	v_mul_hi_u32 v25, s3, v8
	v_mul_lo_u32 v26, s5, v8
	s_delay_alu instid0(VALU_DEP_2) | instskip(SKIP_1) | instid1(VALU_DEP_2)
	v_add_nc_u32_e32 v24, v25, v24
	v_mul_lo_u32 v25, s3, v8
	v_add_nc_u32_e32 v24, v24, v26
	s_delay_alu instid0(VALU_DEP_2) | instskip(NEXT) | instid1(VALU_DEP_2)
	v_mul_hi_u32 v26, v8, v25
	v_mul_lo_u32 v27, v8, v24
	v_mul_hi_u32 v28, v8, v24
	v_mul_hi_u32 v29, v9, v25
	v_mul_lo_u32 v25, v9, v25
	v_mul_hi_u32 v30, v9, v24
	v_mul_lo_u32 v24, v9, v24
	v_add_co_u32 v26, vcc_lo, v26, v27
	v_add_co_ci_u32_e32 v27, vcc_lo, 0, v28, vcc_lo
	s_delay_alu instid0(VALU_DEP_2) | instskip(NEXT) | instid1(VALU_DEP_2)
	v_add_co_u32 v25, vcc_lo, v26, v25
	v_add_co_ci_u32_e32 v25, vcc_lo, v27, v29, vcc_lo
	v_add_co_ci_u32_e32 v26, vcc_lo, 0, v30, vcc_lo
	v_ashrrev_i32_e32 v29, 31, v7
	s_delay_alu instid0(VALU_DEP_3) | instskip(NEXT) | instid1(VALU_DEP_3)
	v_add_co_u32 v24, vcc_lo, v25, v24
	v_add_co_ci_u32_e32 v25, vcc_lo, 0, v26, vcc_lo
	s_delay_alu instid0(VALU_DEP_2) | instskip(NEXT) | instid1(VALU_DEP_2)
	v_add_co_u32 v8, vcc_lo, v8, v24
	v_add_co_ci_u32_e32 v9, vcc_lo, v9, v25, vcc_lo
	s_delay_alu instid0(VALU_DEP_2) | instskip(SKIP_1) | instid1(VALU_DEP_3)
	v_mul_hi_u32 v24, s3, v8
	v_mul_lo_u32 v26, s5, v8
	v_mul_lo_u32 v25, s3, v9
	s_delay_alu instid0(VALU_DEP_1) | instskip(SKIP_1) | instid1(VALU_DEP_2)
	v_add_nc_u32_e32 v24, v24, v25
	v_mul_lo_u32 v25, s3, v8
	v_add_nc_u32_e32 v24, v24, v26
	s_delay_alu instid0(VALU_DEP_2) | instskip(NEXT) | instid1(VALU_DEP_2)
	v_mul_hi_u32 v26, v8, v25
	v_mul_lo_u32 v27, v8, v24
	v_mul_hi_u32 v28, v8, v24
	v_mul_hi_u32 v30, v9, v25
	v_mul_lo_u32 v25, v9, v25
	v_mul_hi_u32 v31, v9, v24
	v_mul_lo_u32 v24, v9, v24
	v_add_co_u32 v26, vcc_lo, v26, v27
	v_add_co_ci_u32_e32 v27, vcc_lo, 0, v28, vcc_lo
	s_delay_alu instid0(VALU_DEP_2) | instskip(NEXT) | instid1(VALU_DEP_2)
	v_add_co_u32 v25, vcc_lo, v26, v25
	v_add_co_ci_u32_e32 v25, vcc_lo, v27, v30, vcc_lo
	v_add_co_ci_u32_e32 v26, vcc_lo, 0, v31, vcc_lo
	v_add_co_u32 v6, vcc_lo, v6, v29
	v_add_co_ci_u32_e32 v7, vcc_lo, v7, v29, vcc_lo
	s_delay_alu instid0(VALU_DEP_4) | instskip(NEXT) | instid1(VALU_DEP_4)
	v_add_co_u32 v24, vcc_lo, v25, v24
	v_add_co_ci_u32_e32 v25, vcc_lo, 0, v26, vcc_lo
	s_delay_alu instid0(VALU_DEP_4) | instskip(NEXT) | instid1(VALU_DEP_3)
	v_xor_b32_e32 v26, v6, v29
	v_add_co_u32 v24, vcc_lo, v8, v24
	s_delay_alu instid0(VALU_DEP_3) | instskip(SKIP_1) | instid1(VALU_DEP_3)
	v_add_co_ci_u32_e32 v27, vcc_lo, v9, v25, vcc_lo
	v_xor_b32_e32 v28, v7, v29
	v_mul_hi_u32 v30, v26, v24
	s_delay_alu instid0(VALU_DEP_3) | instskip(NEXT) | instid1(VALU_DEP_3)
	v_mad_u64_u32 v[6:7], null, v26, v27, 0
	v_mad_u64_u32 v[8:9], null, v28, v24, 0
	;; [unrolled: 1-line block ×3, first 2 shown]
	s_delay_alu instid0(VALU_DEP_3) | instskip(NEXT) | instid1(VALU_DEP_4)
	v_add_co_u32 v6, vcc_lo, v30, v6
	v_add_co_ci_u32_e32 v7, vcc_lo, 0, v7, vcc_lo
	s_delay_alu instid0(VALU_DEP_2) | instskip(NEXT) | instid1(VALU_DEP_2)
	v_add_co_u32 v6, vcc_lo, v6, v8
	v_add_co_ci_u32_e32 v6, vcc_lo, v7, v9, vcc_lo
	v_add_co_ci_u32_e32 v7, vcc_lo, 0, v25, vcc_lo
	s_delay_alu instid0(VALU_DEP_2) | instskip(NEXT) | instid1(VALU_DEP_2)
	v_add_co_u32 v8, vcc_lo, v6, v24
	v_add_co_ci_u32_e32 v9, vcc_lo, 0, v7, vcc_lo
	s_delay_alu instid0(VALU_DEP_2) | instskip(SKIP_1) | instid1(VALU_DEP_3)
	v_mul_lo_u32 v24, s13, v8
	v_mad_u64_u32 v[6:7], null, s12, v8, 0
	v_mul_lo_u32 v9, s12, v9
	s_delay_alu instid0(VALU_DEP_2) | instskip(NEXT) | instid1(VALU_DEP_2)
	v_sub_co_u32 v6, vcc_lo, v26, v6
	v_add3_u32 v7, v7, v9, v24
	v_add_co_u32 v24, s3, v8, 2
	s_delay_alu instid0(VALU_DEP_2) | instskip(NEXT) | instid1(VALU_DEP_1)
	v_sub_nc_u32_e32 v9, v28, v7
	v_subrev_co_ci_u32_e64 v9, s3, s13, v9, vcc_lo
	v_sub_co_u32 v25, s3, v6, s12
	v_sub_co_ci_u32_e32 v7, vcc_lo, v28, v7, vcc_lo
	s_delay_alu instid0(VALU_DEP_3) | instskip(NEXT) | instid1(VALU_DEP_3)
	v_subrev_co_ci_u32_e64 v9, s3, 0, v9, s3
	v_cmp_le_u32_e32 vcc_lo, s12, v25
	v_cndmask_b32_e64 v25, 0, -1, vcc_lo
	s_delay_alu instid0(VALU_DEP_3)
	v_cmp_le_u32_e32 vcc_lo, s13, v9
	v_cndmask_b32_e64 v26, 0, -1, vcc_lo
	v_cmp_le_u32_e32 vcc_lo, s12, v6
	v_cndmask_b32_e64 v6, 0, -1, vcc_lo
	;; [unrolled: 2-line block ×3, first 2 shown]
	v_cmp_eq_u32_e32 vcc_lo, s13, v9
	v_cndmask_b32_e32 v9, v26, v25, vcc_lo
	v_add_co_u32 v25, vcc_lo, v8, 1
	v_cmp_eq_u32_e32 vcc_lo, s13, v7
	v_cndmask_b32_e32 v6, v27, v6, vcc_lo
	s_delay_alu instid0(VALU_DEP_4) | instskip(NEXT) | instid1(VALU_DEP_4)
	v_cmp_ne_u32_e32 vcc_lo, 0, v9
	v_cndmask_b32_e32 v7, v25, v24, vcc_lo
	s_delay_alu instid0(VALU_DEP_3) | instskip(NEXT) | instid1(VALU_DEP_2)
	v_cmp_ne_u32_e32 vcc_lo, 0, v6
                                        ; implicit-def: $vgpr24
	v_cndmask_b32_e32 v6, v8, v7, vcc_lo
	v_xor_b32_e32 v7, s4, v29
	s_delay_alu instid0(VALU_DEP_1) | instskip(NEXT) | instid1(VALU_DEP_1)
	v_xor_b32_e32 v6, v6, v7
	v_sub_co_u32 v8, vcc_lo, v6, v7
                                        ; implicit-def: $vgpr6_vgpr7
	s_and_not1_saveexec_b32 s3, s30
	s_cbranch_execz .LBB5_33
.LBB5_35:                               ;   in Loop: Header=BB5_27 Depth=2
	v_rcp_iflag_f32_e32 v7, v24
	s_sub_i32 s4, 0, s18
	s_waitcnt_depctr 0xfff
	v_mul_f32_e32 v7, 0x4f7ffffe, v7
	s_delay_alu instid0(VALU_DEP_1) | instskip(NEXT) | instid1(VALU_DEP_1)
	v_cvt_u32_f32_e32 v7, v7
	v_mul_lo_u32 v8, s4, v7
	s_delay_alu instid0(VALU_DEP_1) | instskip(NEXT) | instid1(VALU_DEP_1)
	v_mul_hi_u32 v8, v7, v8
	v_add_nc_u32_e32 v7, v7, v8
	s_delay_alu instid0(VALU_DEP_1) | instskip(NEXT) | instid1(VALU_DEP_1)
	v_mul_hi_u32 v7, v6, v7
	v_mul_lo_u32 v8, v7, s18
	s_delay_alu instid0(VALU_DEP_1) | instskip(SKIP_1) | instid1(VALU_DEP_2)
	v_sub_nc_u32_e32 v6, v6, v8
	v_add_nc_u32_e32 v8, 1, v7
	v_subrev_nc_u32_e32 v9, s18, v6
	v_cmp_le_u32_e32 vcc_lo, s18, v6
	s_delay_alu instid0(VALU_DEP_2) | instskip(NEXT) | instid1(VALU_DEP_1)
	v_dual_cndmask_b32 v6, v6, v9 :: v_dual_cndmask_b32 v7, v7, v8
	v_cmp_le_u32_e32 vcc_lo, s18, v6
	s_delay_alu instid0(VALU_DEP_2) | instskip(NEXT) | instid1(VALU_DEP_1)
	v_add_nc_u32_e32 v8, 1, v7
	v_cndmask_b32_e32 v8, v7, v8, vcc_lo
	s_or_b32 exec_lo, exec_lo, s3
	s_delay_alu instid0(SALU_CYCLE_1)
	s_and_not1_b32 vcc_lo, exec_lo, s1
	s_cbranch_vccnz .LBB5_26
.LBB5_36:                               ;   in Loop: Header=BB5_27 Depth=2
	v_lshlrev_b64 v[6:7], 2, v[2:3]
	s_mov_b32 s5, 0
	s_delay_alu instid0(VALU_DEP_1) | instskip(NEXT) | instid1(VALU_DEP_2)
	v_add_co_u32 v6, vcc_lo, v19, v6
	v_add_co_ci_u32_e32 v7, vcc_lo, v20, v7, vcc_lo
	global_load_b32 v6, v[6:7], off
	s_waitcnt vmcnt(0)
	v_div_scale_f32 v7, null, v10, v10, v6
	v_div_scale_f32 v25, vcc_lo, v6, v10, v6
	s_delay_alu instid0(VALU_DEP_2) | instskip(SKIP_2) | instid1(VALU_DEP_1)
	v_rcp_f32_e32 v9, v7
	s_waitcnt_depctr 0xfff
	v_fma_f32 v24, -v7, v9, 1.0
	v_fmac_f32_e32 v9, v24, v9
	s_delay_alu instid0(VALU_DEP_1) | instskip(NEXT) | instid1(VALU_DEP_1)
	v_mul_f32_e32 v24, v25, v9
	v_fma_f32 v26, -v7, v24, v25
	s_delay_alu instid0(VALU_DEP_1) | instskip(NEXT) | instid1(VALU_DEP_1)
	v_fmac_f32_e32 v24, v26, v9
	v_fma_f32 v7, -v7, v24, v25
	s_delay_alu instid0(VALU_DEP_1) | instskip(NEXT) | instid1(VALU_DEP_1)
	v_div_fmas_f32 v7, v7, v9, v24
	v_div_fixup_f32 v9, v7, v10, v6
	s_delay_alu instid0(VALU_DEP_1) | instskip(SKIP_1) | instid1(VALU_DEP_2)
	v_div_scale_f32 v24, null, v18, v18, v9
	v_div_scale_f32 v26, vcc_lo, v9, v18, v9
	v_rcp_f32_e32 v25, v24
	s_waitcnt_depctr 0xfff
	v_fma_f32 v6, -v24, v25, 1.0
	s_delay_alu instid0(VALU_DEP_1) | instskip(SKIP_1) | instid1(VALU_DEP_2)
	v_fmac_f32_e32 v25, v6, v25
	v_mad_i64_i32 v[6:7], null, v23, s6, v[4:5]
	v_mul_f32_e32 v27, v26, v25
	s_delay_alu instid0(VALU_DEP_1) | instskip(NEXT) | instid1(VALU_DEP_1)
	v_fma_f32 v4, -v24, v27, v26
	v_fmac_f32_e32 v27, v4, v25
	s_delay_alu instid0(VALU_DEP_4) | instskip(NEXT) | instid1(VALU_DEP_2)
	v_sub_nc_u32_e32 v4, v8, v6
	v_fma_f32 v5, -v24, v27, v26
	s_delay_alu instid0(VALU_DEP_2) | instskip(NEXT) | instid1(VALU_DEP_2)
	v_add_nc_u32_e32 v8, 1, v4
	v_div_fmas_f32 v4, v5, v25, v27
	s_delay_alu instid0(VALU_DEP_2) | instskip(SKIP_1) | instid1(VALU_DEP_3)
	v_cvt_f32_i32_e32 v7, v8
	v_cmp_lt_i32_e64 s3, 0, v8
	v_div_fixup_f32 v24, v4, v18, v9
	s_delay_alu instid0(VALU_DEP_1) | instskip(SKIP_1) | instid1(VALU_DEP_2)
	v_div_scale_f32 v9, null, v7, v7, v24
	v_div_scale_f32 v25, vcc_lo, v24, v7, v24
	v_rcp_f32_e32 v23, v9
	s_waitcnt_depctr 0xfff
	v_fma_f32 v4, -v9, v23, 1.0
	s_delay_alu instid0(VALU_DEP_1) | instskip(NEXT) | instid1(VALU_DEP_1)
	v_dual_fmac_f32 v23, v4, v23 :: v_dual_mov_b32 v4, v3
	v_mul_f32_e32 v26, v25, v23
	s_delay_alu instid0(VALU_DEP_1) | instskip(NEXT) | instid1(VALU_DEP_1)
	v_fma_f32 v5, -v9, v26, v25
	v_dual_fmac_f32 v26, v5, v23 :: v_dual_mov_b32 v5, v6
	s_delay_alu instid0(VALU_DEP_1) | instskip(NEXT) | instid1(VALU_DEP_2)
	v_fma_f32 v6, -v9, v26, v25
	v_ashrrev_i64 v[4:5], 30, v[4:5]
	s_delay_alu instid0(VALU_DEP_2) | instskip(NEXT) | instid1(VALU_DEP_2)
	v_div_fmas_f32 v6, v6, v23, v26
	v_add_co_u32 v9, vcc_lo, v21, v4
	s_delay_alu instid0(VALU_DEP_3) | instskip(NEXT) | instid1(VALU_DEP_3)
	v_add_co_ci_u32_e32 v23, vcc_lo, v22, v5, vcc_lo
	v_div_fixup_f32 v24, v6, v7, v24
	s_branch .LBB5_38
.LBB5_37:                               ;   in Loop: Header=BB5_38 Depth=3
	s_set_inst_prefetch_distance 0x2
	s_or_b32 exec_lo, exec_lo, s4
	s_add_i32 s5, s5, 1
	v_add_co_u32 v9, s4, v9, s10
	v_cmp_ne_u32_e32 vcc_lo, s5, v11
	v_add_co_ci_u32_e64 v23, s4, s11, v23, s4
	s_cbranch_vccz .LBB5_26
.LBB5_38:                               ;   Parent Loop BB5_12 Depth=1
                                        ;     Parent Loop BB5_27 Depth=2
                                        ; =>    This Loop Header: Depth=3
                                        ;         Child Loop BB5_41 Depth 4
                                        ;           Child Loop BB5_43 Depth 5
                                        ;             Child Loop BB5_44 Depth 6
	s_and_saveexec_b32 s4, s2
	s_cbranch_execz .LBB5_37
; %bb.39:                               ;   in Loop: Header=BB5_38 Depth=3
	s_mov_b32 s12, 0
	s_mov_b32 s13, 0
	s_set_inst_prefetch_distance 0x1
	s_branch .LBB5_41
	.p2align	6
.LBB5_40:                               ;   in Loop: Header=BB5_41 Depth=4
	s_or_b32 exec_lo, exec_lo, s30
	s_add_i32 s13, s13, 1
	s_delay_alu instid0(SALU_CYCLE_1) | instskip(SKIP_1) | instid1(SALU_CYCLE_1)
	v_cmp_ge_i32_e32 vcc_lo, s13, v17
	s_or_b32 s12, vcc_lo, s12
	s_and_not1_b32 exec_lo, exec_lo, s12
	s_cbranch_execz .LBB5_37
.LBB5_41:                               ;   Parent Loop BB5_12 Depth=1
                                        ;     Parent Loop BB5_27 Depth=2
                                        ;       Parent Loop BB5_38 Depth=3
                                        ; =>      This Loop Header: Depth=4
                                        ;           Child Loop BB5_43 Depth 5
                                        ;             Child Loop BB5_44 Depth 6
	s_and_saveexec_b32 s30, s3
	s_cbranch_execz .LBB5_40
; %bb.42:                               ;   in Loop: Header=BB5_41 Depth=4
	s_mul_i32 s31, s13, s6
	s_mov_b32 s33, 0
	s_mov_b32 s34, 0
	.p2align	6
.LBB5_43:                               ;   Parent Loop BB5_12 Depth=1
                                        ;     Parent Loop BB5_27 Depth=2
                                        ;       Parent Loop BB5_38 Depth=3
                                        ;         Parent Loop BB5_41 Depth=4
                                        ; =>        This Loop Header: Depth=5
                                        ;             Child Loop BB5_44 Depth 6
	s_delay_alu instid0(SALU_CYCLE_1) | instskip(SKIP_2) | instid1(SALU_CYCLE_1)
	s_add_i32 s36, s34, s31
	s_mov_b32 s35, 0
	s_ashr_i32 s37, s36, 31
	s_lshl_b64 s[36:37], s[36:37], 2
	s_delay_alu instid0(SALU_CYCLE_1)
	v_add_co_u32 v4, vcc_lo, v9, s36
	v_add_co_ci_u32_e32 v5, vcc_lo, s37, v23, vcc_lo
	global_load_b32 v7, v[4:5], off
.LBB5_44:                               ;   Parent Loop BB5_12 Depth=1
                                        ;     Parent Loop BB5_27 Depth=2
                                        ;       Parent Loop BB5_38 Depth=3
                                        ;         Parent Loop BB5_41 Depth=4
                                        ;           Parent Loop BB5_43 Depth=5
                                        ; =>          This Inner Loop Header: Depth=6
	s_waitcnt vmcnt(0)
	v_add_f32_e32 v6, v7, v24
	global_atomic_cmpswap_b32 v6, v[4:5], v[6:7], off glc
	s_waitcnt vmcnt(0)
	v_cmp_eq_u32_e32 vcc_lo, v6, v7
	v_mov_b32_e32 v7, v6
	s_or_b32 s35, vcc_lo, s35
	s_delay_alu instid0(SALU_CYCLE_1)
	s_and_not1_b32 exec_lo, exec_lo, s35
	s_cbranch_execnz .LBB5_44
; %bb.45:                               ;   in Loop: Header=BB5_43 Depth=5
	s_or_b32 exec_lo, exec_lo, s35
	s_add_i32 s34, s34, 1
	s_delay_alu instid0(SALU_CYCLE_1) | instskip(SKIP_1) | instid1(SALU_CYCLE_1)
	v_cmp_ge_i32_e32 vcc_lo, s34, v8
	s_or_b32 s33, vcc_lo, s33
	s_and_not1_b32 exec_lo, exec_lo, s33
	s_cbranch_execnz .LBB5_43
	s_branch .LBB5_40
.LBB5_46:
	s_endpgm
.LBB5_47:
                                        ; implicit-def: $sgpr16_sgpr17
	s_branch .LBB5_2
.LBB5_48:
                                        ; implicit-def: $vgpr3_vgpr4
	s_load_b32 s24, s[0:1], 0x3c
	s_branch .LBB5_5
.LBB5_49:
                                        ; implicit-def: $vgpr4_vgpr5
	s_load_b32 s20, s[0:1], 0x34
	s_branch .LBB5_9
	.section	.rodata,"a",@progbits
	.p2align	6, 0x0
	.amdhsa_kernel _ZN2at6native12_GLOBAL__N_130atomicadaptiveaveragegradinputIfEEvPT_PKS3_iiiiiil
		.amdhsa_group_segment_fixed_size 0
		.amdhsa_private_segment_fixed_size 0
		.amdhsa_kernarg_size 304
		.amdhsa_user_sgpr_count 14
		.amdhsa_user_sgpr_dispatch_ptr 0
		.amdhsa_user_sgpr_queue_ptr 0
		.amdhsa_user_sgpr_kernarg_segment_ptr 1
		.amdhsa_user_sgpr_dispatch_id 0
		.amdhsa_user_sgpr_private_segment_size 0
		.amdhsa_wavefront_size32 1
		.amdhsa_uses_dynamic_stack 0
		.amdhsa_enable_private_segment 0
		.amdhsa_system_sgpr_workgroup_id_x 1
		.amdhsa_system_sgpr_workgroup_id_y 1
		.amdhsa_system_sgpr_workgroup_id_z 0
		.amdhsa_system_sgpr_workgroup_info 0
		.amdhsa_system_vgpr_workitem_id 1
		.amdhsa_next_free_vgpr 32
		.amdhsa_next_free_sgpr 38
		.amdhsa_reserve_vcc 1
		.amdhsa_float_round_mode_32 0
		.amdhsa_float_round_mode_16_64 0
		.amdhsa_float_denorm_mode_32 3
		.amdhsa_float_denorm_mode_16_64 3
		.amdhsa_dx10_clamp 1
		.amdhsa_ieee_mode 1
		.amdhsa_fp16_overflow 0
		.amdhsa_workgroup_processor_mode 1
		.amdhsa_memory_ordered 1
		.amdhsa_forward_progress 0
		.amdhsa_shared_vgpr_count 0
		.amdhsa_exception_fp_ieee_invalid_op 0
		.amdhsa_exception_fp_denorm_src 0
		.amdhsa_exception_fp_ieee_div_zero 0
		.amdhsa_exception_fp_ieee_overflow 0
		.amdhsa_exception_fp_ieee_underflow 0
		.amdhsa_exception_fp_ieee_inexact 0
		.amdhsa_exception_int_div_zero 0
	.end_amdhsa_kernel
	.section	.text._ZN2at6native12_GLOBAL__N_130atomicadaptiveaveragegradinputIfEEvPT_PKS3_iiiiiil,"axG",@progbits,_ZN2at6native12_GLOBAL__N_130atomicadaptiveaveragegradinputIfEEvPT_PKS3_iiiiiil,comdat
.Lfunc_end5:
	.size	_ZN2at6native12_GLOBAL__N_130atomicadaptiveaveragegradinputIfEEvPT_PKS3_iiiiiil, .Lfunc_end5-_ZN2at6native12_GLOBAL__N_130atomicadaptiveaveragegradinputIfEEvPT_PKS3_iiiiiil
                                        ; -- End function
	.section	.AMDGPU.csdata,"",@progbits
; Kernel info:
; codeLenInByte = 8028
; NumSgprs: 40
; NumVgprs: 32
; ScratchSize: 0
; MemoryBound: 0
; FloatMode: 240
; IeeeMode: 1
; LDSByteSize: 0 bytes/workgroup (compile time only)
; SGPRBlocks: 4
; VGPRBlocks: 3
; NumSGPRsForWavesPerEU: 40
; NumVGPRsForWavesPerEU: 32
; Occupancy: 16
; WaveLimiterHint : 0
; COMPUTE_PGM_RSRC2:SCRATCH_EN: 0
; COMPUTE_PGM_RSRC2:USER_SGPR: 14
; COMPUTE_PGM_RSRC2:TRAP_HANDLER: 0
; COMPUTE_PGM_RSRC2:TGID_X_EN: 1
; COMPUTE_PGM_RSRC2:TGID_Y_EN: 1
; COMPUTE_PGM_RSRC2:TGID_Z_EN: 0
; COMPUTE_PGM_RSRC2:TIDIG_COMP_CNT: 1
	.section	.text._ZN2at6native12_GLOBAL__N_130atomicadaptiveaveragegradinputIN3c104HalfEEEvPT_PKS5_iiiiiil,"axG",@progbits,_ZN2at6native12_GLOBAL__N_130atomicadaptiveaveragegradinputIN3c104HalfEEEvPT_PKS5_iiiiiil,comdat
	.globl	_ZN2at6native12_GLOBAL__N_130atomicadaptiveaveragegradinputIN3c104HalfEEEvPT_PKS5_iiiiiil ; -- Begin function _ZN2at6native12_GLOBAL__N_130atomicadaptiveaveragegradinputIN3c104HalfEEEvPT_PKS5_iiiiiil
	.p2align	8
	.type	_ZN2at6native12_GLOBAL__N_130atomicadaptiveaveragegradinputIN3c104HalfEEEvPT_PKS5_iiiiiil,@function
_ZN2at6native12_GLOBAL__N_130atomicadaptiveaveragegradinputIN3c104HalfEEEvPT_PKS5_iiiiiil: ; @_ZN2at6native12_GLOBAL__N_130atomicadaptiveaveragegradinputIN3c104HalfEEEvPT_PKS5_iiiiiil
; %bb.0:
	s_load_b256 s[4:11], s[0:1], 0x10
	s_waitcnt lgkmcnt(0)
	s_add_u32 s10, s14, s10
	s_addc_u32 s11, 0, s11
	s_ashr_i32 s13, s7, 31
	s_mov_b32 s12, s7
	s_delay_alu instid0(SALU_CYCLE_1) | instskip(SKIP_1) | instid1(SALU_CYCLE_1)
	s_or_b64 s[2:3], s[10:11], s[12:13]
	s_mov_b32 s2, 0
	s_cmp_lg_u64 s[2:3], 0
	s_cbranch_scc0 .LBB6_51
; %bb.1:
	s_add_u32 s18, s12, s13
	s_mov_b32 s16, s13
	s_mov_b32 s17, s13
	s_addc_u32 s19, s13, s13
	s_delay_alu instid0(SALU_CYCLE_1) | instskip(NEXT) | instid1(SALU_CYCLE_1)
	s_xor_b64 s[18:19], s[18:19], s[16:17]
	v_cvt_f32_u32_e32 v1, s18
	v_cvt_f32_u32_e32 v2, s19
	s_sub_u32 s14, 0, s18
	s_subb_u32 s20, 0, s19
	s_delay_alu instid0(VALU_DEP_1) | instskip(NEXT) | instid1(VALU_DEP_1)
	v_fmamk_f32 v1, v2, 0x4f800000, v1
	v_rcp_f32_e32 v1, v1
	s_waitcnt_depctr 0xfff
	v_mul_f32_e32 v1, 0x5f7ffffc, v1
	s_delay_alu instid0(VALU_DEP_1) | instskip(NEXT) | instid1(VALU_DEP_1)
	v_mul_f32_e32 v2, 0x2f800000, v1
	v_trunc_f32_e32 v2, v2
	s_delay_alu instid0(VALU_DEP_1) | instskip(SKIP_1) | instid1(VALU_DEP_2)
	v_fmamk_f32 v1, v2, 0xcf800000, v1
	v_cvt_u32_f32_e32 v2, v2
	v_cvt_u32_f32_e32 v1, v1
	s_delay_alu instid0(VALU_DEP_2) | instskip(NEXT) | instid1(VALU_DEP_2)
	v_readfirstlane_b32 s3, v2
	v_readfirstlane_b32 s7, v1
	s_delay_alu instid0(VALU_DEP_2) | instskip(NEXT) | instid1(VALU_DEP_1)
	s_mul_i32 s21, s14, s3
	s_mul_hi_u32 s23, s14, s7
	s_mul_i32 s22, s20, s7
	s_add_i32 s21, s23, s21
	s_mul_i32 s24, s14, s7
	s_add_i32 s21, s21, s22
	s_mul_hi_u32 s23, s7, s24
	s_mul_hi_u32 s25, s3, s24
	s_mul_i32 s22, s3, s24
	s_mul_hi_u32 s24, s7, s21
	s_mul_i32 s7, s7, s21
	s_mul_hi_u32 s26, s3, s21
	s_add_u32 s7, s23, s7
	s_addc_u32 s23, 0, s24
	s_add_u32 s7, s7, s22
	s_mul_i32 s21, s3, s21
	s_addc_u32 s7, s23, s25
	s_addc_u32 s22, s26, 0
	s_add_u32 s7, s7, s21
	s_addc_u32 s21, 0, s22
	v_add_co_u32 v1, s7, v1, s7
	s_delay_alu instid0(VALU_DEP_1) | instskip(SKIP_1) | instid1(VALU_DEP_1)
	s_cmp_lg_u32 s7, 0
	s_addc_u32 s3, s3, s21
	v_readfirstlane_b32 s7, v1
	s_mul_i32 s21, s14, s3
	s_delay_alu instid0(VALU_DEP_1)
	s_mul_hi_u32 s22, s14, s7
	s_mul_i32 s20, s20, s7
	s_add_i32 s21, s22, s21
	s_mul_i32 s14, s14, s7
	s_add_i32 s21, s21, s20
	s_mul_hi_u32 s22, s3, s14
	s_mul_i32 s23, s3, s14
	s_mul_hi_u32 s14, s7, s14
	s_mul_hi_u32 s24, s7, s21
	s_mul_i32 s7, s7, s21
	s_mul_hi_u32 s20, s3, s21
	s_add_u32 s7, s14, s7
	s_addc_u32 s14, 0, s24
	s_add_u32 s7, s7, s23
	s_mul_i32 s21, s3, s21
	s_addc_u32 s7, s14, s22
	s_addc_u32 s14, s20, 0
	s_add_u32 s7, s7, s21
	s_addc_u32 s14, 0, s14
	v_add_co_u32 v1, s7, v1, s7
	s_delay_alu instid0(VALU_DEP_1) | instskip(SKIP_2) | instid1(VALU_DEP_1)
	s_cmp_lg_u32 s7, 0
	s_addc_u32 s3, s3, s14
	s_ashr_i32 s20, s11, 31
	v_readfirstlane_b32 s7, v1
	s_add_u32 s22, s10, s20
	s_mov_b32 s21, s20
	s_addc_u32 s23, s11, s20
	s_delay_alu instid0(SALU_CYCLE_1) | instskip(NEXT) | instid1(SALU_CYCLE_1)
	s_xor_b64 s[22:23], s[22:23], s[20:21]
	s_mul_i32 s24, s22, s3
	s_mul_hi_u32 s25, s22, s7
	s_mul_hi_u32 s14, s22, s3
	;; [unrolled: 1-line block ×3, first 2 shown]
	s_mul_i32 s7, s23, s7
	s_add_u32 s24, s25, s24
	s_addc_u32 s14, 0, s14
	s_mul_hi_u32 s26, s23, s3
	s_add_u32 s7, s24, s7
	s_mul_i32 s3, s23, s3
	s_addc_u32 s7, s14, s27
	s_addc_u32 s14, s26, 0
	s_add_u32 s3, s7, s3
	s_addc_u32 s7, 0, s14
	s_mul_i32 s26, s18, s3
	s_mul_hi_u32 s14, s18, s3
	s_mul_i32 s25, s18, s7
	v_sub_co_u32 v1, s22, s22, s26
	s_mul_i32 s24, s19, s3
	s_add_i32 s14, s14, s25
	s_delay_alu instid0(SALU_CYCLE_1) | instskip(NEXT) | instid1(VALU_DEP_1)
	s_add_i32 s14, s14, s24
	v_sub_co_u32 v2, s25, v1, s18
	s_sub_i32 s24, s23, s14
	s_cmp_lg_u32 s22, 0
	s_subb_u32 s24, s24, s19
	s_cmp_lg_u32 s25, 0
	v_readfirstlane_b32 s25, v2
	s_subb_u32 s24, s24, 0
	s_delay_alu instid0(SALU_CYCLE_1) | instskip(SKIP_1) | instid1(VALU_DEP_1)
	s_cmp_ge_u32 s24, s19
	s_cselect_b32 s26, -1, 0
	s_cmp_ge_u32 s25, s18
	s_cselect_b32 s25, -1, 0
	s_cmp_eq_u32 s24, s19
	s_cselect_b32 s24, s25, s26
	s_add_u32 s25, s3, 1
	s_addc_u32 s26, s7, 0
	s_add_u32 s27, s3, 2
	s_addc_u32 s28, s7, 0
	s_cmp_lg_u32 s24, 0
	s_cselect_b32 s24, s27, s25
	s_cselect_b32 s25, s28, s26
	s_cmp_lg_u32 s22, 0
	v_readfirstlane_b32 s22, v1
	s_subb_u32 s14, s23, s14
	s_delay_alu instid0(SALU_CYCLE_1) | instskip(SKIP_1) | instid1(VALU_DEP_1)
	s_cmp_ge_u32 s14, s19
	s_cselect_b32 s23, -1, 0
	s_cmp_ge_u32 s22, s18
	s_cselect_b32 s18, -1, 0
	s_cmp_eq_u32 s14, s19
	s_cselect_b32 s14, s18, s23
	s_delay_alu instid0(SALU_CYCLE_1) | instskip(SKIP_3) | instid1(SALU_CYCLE_1)
	s_cmp_lg_u32 s14, 0
	s_cselect_b32 s19, s25, s7
	s_cselect_b32 s18, s24, s3
	s_xor_b64 s[16:17], s[20:21], s[16:17]
	s_xor_b64 s[18:19], s[18:19], s[16:17]
	s_delay_alu instid0(SALU_CYCLE_1)
	s_sub_u32 s16, s18, s16
	s_subb_u32 s17, s19, s17
	s_and_not1_b32 vcc_lo, exec_lo, s2
	s_cbranch_vccnz .LBB6_3
.LBB6_2:
	v_cvt_f32_u32_e32 v1, s12
	s_sub_i32 s3, 0, s12
	s_mov_b32 s17, 0
	s_delay_alu instid0(VALU_DEP_1) | instskip(SKIP_2) | instid1(VALU_DEP_1)
	v_rcp_iflag_f32_e32 v1, v1
	s_waitcnt_depctr 0xfff
	v_mul_f32_e32 v1, 0x4f7ffffe, v1
	v_cvt_u32_f32_e32 v1, v1
	s_delay_alu instid0(VALU_DEP_1) | instskip(NEXT) | instid1(VALU_DEP_1)
	v_readfirstlane_b32 s2, v1
	s_mul_i32 s3, s3, s2
	s_delay_alu instid0(SALU_CYCLE_1) | instskip(NEXT) | instid1(SALU_CYCLE_1)
	s_mul_hi_u32 s3, s2, s3
	s_add_i32 s2, s2, s3
	s_delay_alu instid0(SALU_CYCLE_1) | instskip(NEXT) | instid1(SALU_CYCLE_1)
	s_mul_hi_u32 s2, s10, s2
	s_mul_i32 s3, s2, s12
	s_add_i32 s7, s2, 1
	s_sub_i32 s3, s10, s3
	s_delay_alu instid0(SALU_CYCLE_1)
	s_sub_i32 s14, s3, s12
	s_cmp_ge_u32 s3, s12
	s_cselect_b32 s2, s7, s2
	s_cselect_b32 s3, s14, s3
	s_add_i32 s7, s2, 1
	s_cmp_ge_u32 s3, s12
	s_cselect_b32 s16, s7, s2
.LBB6_3:
	s_delay_alu instid0(SALU_CYCLE_1) | instskip(SKIP_4) | instid1(SALU_CYCLE_1)
	s_mul_i32 s2, s16, s13
	s_mul_hi_u32 s3, s16, s12
	s_mul_i32 s7, s16, s12
	s_add_i32 s2, s3, s2
	s_mul_i32 s3, s17, s12
	s_add_i32 s2, s2, s3
	s_sub_u32 s3, s10, s7
	s_subb_u32 s2, s11, s2
	s_ashr_i32 s7, s4, 31
	s_mul_hi_u32 s17, s3, s4
	s_mul_i32 s14, s3, s7
	s_mul_i32 s2, s2, s4
	s_add_i32 s14, s17, s14
	s_mul_i32 s18, s3, s4
	s_add_i32 s19, s14, s2
	s_mov_b32 s14, s4
	s_or_b64 s[20:21], s[18:19], s[12:13]
	s_mov_b32 s20, 0
	s_delay_alu instid0(SALU_CYCLE_1)
	s_cmp_lg_u64 s[20:21], 0
	s_cbranch_scc0 .LBB6_52
; %bb.4:
	s_add_u32 s2, s12, s13
	s_mov_b32 s22, s13
	s_mov_b32 s23, s13
	s_addc_u32 s3, s13, s13
	s_delay_alu instid0(SALU_CYCLE_1) | instskip(NEXT) | instid1(SALU_CYCLE_1)
	s_xor_b64 s[2:3], s[2:3], s[22:23]
	v_cvt_f32_u32_e32 v1, s2
	v_cvt_f32_u32_e32 v2, s3
	s_sub_u32 s24, 0, s2
	s_subb_u32 s25, 0, s3
	s_delay_alu instid0(VALU_DEP_1) | instskip(NEXT) | instid1(VALU_DEP_1)
	v_fmamk_f32 v1, v2, 0x4f800000, v1
	v_rcp_f32_e32 v1, v1
	s_waitcnt_depctr 0xfff
	v_mul_f32_e32 v1, 0x5f7ffffc, v1
	s_delay_alu instid0(VALU_DEP_1) | instskip(NEXT) | instid1(VALU_DEP_1)
	v_mul_f32_e32 v2, 0x2f800000, v1
	v_trunc_f32_e32 v2, v2
	s_delay_alu instid0(VALU_DEP_1) | instskip(SKIP_1) | instid1(VALU_DEP_2)
	v_fmamk_f32 v1, v2, 0xcf800000, v1
	v_cvt_u32_f32_e32 v2, v2
	v_cvt_u32_f32_e32 v1, v1
	s_delay_alu instid0(VALU_DEP_2) | instskip(NEXT) | instid1(VALU_DEP_2)
	v_readfirstlane_b32 s17, v2
	v_readfirstlane_b32 s21, v1
	s_delay_alu instid0(VALU_DEP_2) | instskip(NEXT) | instid1(VALU_DEP_1)
	s_mul_i32 s26, s24, s17
	s_mul_hi_u32 s28, s24, s21
	s_mul_i32 s27, s25, s21
	s_add_i32 s26, s28, s26
	s_mul_i32 s29, s24, s21
	s_add_i32 s26, s26, s27
	s_mul_hi_u32 s28, s21, s29
	s_mul_hi_u32 s30, s17, s29
	s_mul_i32 s27, s17, s29
	s_mul_hi_u32 s29, s21, s26
	s_mul_i32 s21, s21, s26
	s_mul_hi_u32 s31, s17, s26
	s_add_u32 s21, s28, s21
	s_addc_u32 s28, 0, s29
	s_add_u32 s21, s21, s27
	s_mul_i32 s26, s17, s26
	s_addc_u32 s21, s28, s30
	s_addc_u32 s27, s31, 0
	s_add_u32 s21, s21, s26
	s_addc_u32 s26, 0, s27
	v_add_co_u32 v1, s21, v1, s21
	s_delay_alu instid0(VALU_DEP_1) | instskip(SKIP_1) | instid1(VALU_DEP_1)
	s_cmp_lg_u32 s21, 0
	s_addc_u32 s17, s17, s26
	v_readfirstlane_b32 s21, v1
	s_mul_i32 s26, s24, s17
	s_delay_alu instid0(VALU_DEP_1)
	s_mul_hi_u32 s27, s24, s21
	s_mul_i32 s25, s25, s21
	s_add_i32 s26, s27, s26
	s_mul_i32 s24, s24, s21
	s_add_i32 s26, s26, s25
	s_mul_hi_u32 s27, s17, s24
	s_mul_i32 s28, s17, s24
	s_mul_hi_u32 s24, s21, s24
	s_mul_hi_u32 s29, s21, s26
	s_mul_i32 s21, s21, s26
	s_mul_hi_u32 s25, s17, s26
	s_add_u32 s21, s24, s21
	s_addc_u32 s24, 0, s29
	s_add_u32 s21, s21, s28
	s_mul_i32 s26, s17, s26
	s_addc_u32 s21, s24, s27
	s_addc_u32 s24, s25, 0
	s_add_u32 s21, s21, s26
	s_addc_u32 s24, 0, s24
	v_add_co_u32 v1, s21, v1, s21
	s_delay_alu instid0(VALU_DEP_1) | instskip(SKIP_2) | instid1(VALU_DEP_1)
	s_cmp_lg_u32 s21, 0
	s_addc_u32 s17, s17, s24
	s_ashr_i32 s24, s19, 31
	v_readfirstlane_b32 s21, v1
	s_add_u32 s26, s18, s24
	s_mov_b32 s25, s24
	s_addc_u32 s27, s19, s24
	s_delay_alu instid0(SALU_CYCLE_1) | instskip(NEXT) | instid1(SALU_CYCLE_1)
	s_xor_b64 s[26:27], s[26:27], s[24:25]
	s_mul_i32 s29, s26, s17
	s_mul_hi_u32 s30, s26, s21
	s_mul_hi_u32 s28, s26, s17
	;; [unrolled: 1-line block ×3, first 2 shown]
	s_mul_i32 s21, s27, s21
	s_add_u32 s29, s30, s29
	s_addc_u32 s28, 0, s28
	s_mul_hi_u32 s31, s27, s17
	s_add_u32 s21, s29, s21
	s_mul_i32 s17, s27, s17
	s_addc_u32 s21, s28, s33
	s_addc_u32 s28, s31, 0
	s_add_u32 s17, s21, s17
	s_addc_u32 s21, 0, s28
	s_mul_hi_u32 s28, s2, s17
	s_mul_i32 s21, s2, s21
	s_mul_i32 s30, s2, s17
	;; [unrolled: 1-line block ×3, first 2 shown]
	s_add_i32 s21, s28, s21
	v_sub_co_u32 v1, s26, s26, s30
	s_add_i32 s21, s21, s29
	s_delay_alu instid0(SALU_CYCLE_1) | instskip(SKIP_1) | instid1(VALU_DEP_1)
	s_sub_i32 s28, s27, s21
	s_cmp_lg_u32 s26, 0
	v_sub_co_u32 v2, s29, v1, s2
	s_subb_u32 s28, s28, s3
	s_cmp_lg_u32 s29, 0
	s_subb_u32 s28, s28, 0
	s_delay_alu instid0(VALU_DEP_1)
	v_cmp_le_u32_e32 vcc_lo, s2, v2
	s_cmp_ge_u32 s28, s3
	v_cmp_le_u32_e64 s2, s2, v1
	s_cselect_b32 s29, -1, 0
	s_cmp_eq_u32 s28, s3
	v_cndmask_b32_e64 v2, 0, -1, vcc_lo
	s_cselect_b32 vcc_lo, -1, 0
	s_add_u32 s28, s17, 1
	s_add_u32 s30, s17, 2
	s_cmp_lg_u32 s26, 0
	v_mov_b32_e32 v3, s30
	v_cndmask_b32_e64 v1, 0, -1, s2
	s_subb_u32 s2, s27, s21
	v_cndmask_b32_e32 v2, s29, v2, vcc_lo
	s_cmp_ge_u32 s2, s3
	s_cselect_b32 s21, -1, 0
	s_cmp_eq_u32 s2, s3
	s_cselect_b32 vcc_lo, -1, 0
	s_xor_b64 s[2:3], s[24:25], s[22:23]
	v_cndmask_b32_e32 v1, s21, v1, vcc_lo
	v_cmp_ne_u32_e32 vcc_lo, 0, v2
	v_cndmask_b32_e32 v2, s28, v3, vcc_lo
	s_delay_alu instid0(VALU_DEP_3) | instskip(NEXT) | instid1(VALU_DEP_2)
	v_cmp_ne_u32_e32 vcc_lo, 0, v1
	v_cndmask_b32_e32 v1, s17, v2, vcc_lo
	s_delay_alu instid0(VALU_DEP_1) | instskip(NEXT) | instid1(VALU_DEP_1)
	v_xor_b32_e32 v1, s2, v1
	v_sub_co_u32 v3, vcc_lo, v1, s2
	s_load_b32 s24, s[0:1], 0x3c
	s_and_not1_b32 vcc_lo, exec_lo, s20
	s_cbranch_vccnz .LBB6_6
.LBB6_5:
	v_cvt_f32_u32_e32 v1, s12
	s_sub_i32 s2, 0, s12
	s_delay_alu instid0(VALU_DEP_1) | instskip(SKIP_2) | instid1(VALU_DEP_1)
	v_rcp_iflag_f32_e32 v1, v1
	s_waitcnt_depctr 0xfff
	v_mul_f32_e32 v1, 0x4f7ffffe, v1
	v_cvt_u32_f32_e32 v1, v1
	s_delay_alu instid0(VALU_DEP_1) | instskip(NEXT) | instid1(VALU_DEP_1)
	v_mul_lo_u32 v2, s2, v1
	v_mul_hi_u32 v2, v1, v2
	s_delay_alu instid0(VALU_DEP_1) | instskip(NEXT) | instid1(VALU_DEP_1)
	v_add_nc_u32_e32 v1, v1, v2
	v_mul_hi_u32 v1, s18, v1
	s_delay_alu instid0(VALU_DEP_1) | instskip(SKIP_1) | instid1(VALU_DEP_2)
	v_mul_lo_u32 v2, v1, s12
	v_add_nc_u32_e32 v3, 1, v1
	v_sub_nc_u32_e32 v2, s18, v2
	s_delay_alu instid0(VALU_DEP_1) | instskip(SKIP_1) | instid1(VALU_DEP_2)
	v_subrev_nc_u32_e32 v4, s12, v2
	v_cmp_le_u32_e32 vcc_lo, s12, v2
	v_dual_cndmask_b32 v2, v2, v4 :: v_dual_cndmask_b32 v1, v1, v3
	s_delay_alu instid0(VALU_DEP_1) | instskip(NEXT) | instid1(VALU_DEP_2)
	v_cmp_le_u32_e32 vcc_lo, s12, v2
	v_add_nc_u32_e32 v3, 1, v1
	s_delay_alu instid0(VALU_DEP_1)
	v_cndmask_b32_e32 v3, v1, v3, vcc_lo
.LBB6_6:
	v_bfe_u32 v4, v0, 10, 10
	s_waitcnt lgkmcnt(0)
	s_lshr_b32 s22, s24, 16
	s_mov_b32 s2, exec_lo
	s_delay_alu instid0(VALU_DEP_1) | instskip(NEXT) | instid1(VALU_DEP_1)
	v_mad_u64_u32 v[1:2], null, s15, s22, v[4:5]
	v_cmpx_gt_i32_e64 s8, v1
	s_cbranch_execz .LBB6_50
; %bb.7:
	s_add_u32 s2, s18, s14
	s_addc_u32 s3, s19, s7
	s_add_u32 s14, s2, -1
	s_addc_u32 s15, s3, -1
	s_delay_alu instid0(SALU_CYCLE_1) | instskip(SKIP_1) | instid1(SALU_CYCLE_1)
	s_or_b64 s[18:19], s[14:15], s[12:13]
	s_mov_b32 s18, 0
	s_cmp_lg_u64 s[18:19], 0
	s_cbranch_scc0 .LBB6_53
; %bb.8:
	s_add_u32 s2, s12, s13
	s_mov_b32 s20, s13
	s_mov_b32 s21, s13
	s_addc_u32 s3, s13, s13
	s_delay_alu instid0(SALU_CYCLE_1) | instskip(NEXT) | instid1(SALU_CYCLE_1)
	s_xor_b64 s[2:3], s[2:3], s[20:21]
	v_cvt_f32_u32_e32 v2, s2
	v_cvt_f32_u32_e32 v4, s3
	s_sub_u32 s17, 0, s2
	s_subb_u32 s19, 0, s3
	s_delay_alu instid0(VALU_DEP_1) | instskip(NEXT) | instid1(VALU_DEP_1)
	v_fmamk_f32 v2, v4, 0x4f800000, v2
	v_rcp_f32_e32 v2, v2
	s_waitcnt_depctr 0xfff
	v_mul_f32_e32 v2, 0x5f7ffffc, v2
	s_delay_alu instid0(VALU_DEP_1) | instskip(NEXT) | instid1(VALU_DEP_1)
	v_mul_f32_e32 v4, 0x2f800000, v2
	v_trunc_f32_e32 v4, v4
	s_delay_alu instid0(VALU_DEP_1) | instskip(SKIP_1) | instid1(VALU_DEP_2)
	v_fmamk_f32 v2, v4, 0xcf800000, v2
	v_cvt_u32_f32_e32 v4, v4
	v_cvt_u32_f32_e32 v2, v2
	s_delay_alu instid0(VALU_DEP_2) | instskip(NEXT) | instid1(VALU_DEP_2)
	v_readfirstlane_b32 s7, v4
	v_readfirstlane_b32 s13, v2
	s_delay_alu instid0(VALU_DEP_2) | instskip(NEXT) | instid1(VALU_DEP_1)
	s_mul_i32 s23, s17, s7
	s_mul_hi_u32 s26, s17, s13
	s_mul_i32 s25, s19, s13
	s_add_i32 s23, s26, s23
	s_mul_i32 s27, s17, s13
	s_add_i32 s23, s23, s25
	s_mul_hi_u32 s26, s13, s27
	s_mul_hi_u32 s28, s7, s27
	s_mul_i32 s25, s7, s27
	s_mul_hi_u32 s27, s13, s23
	s_mul_i32 s13, s13, s23
	s_mul_hi_u32 s29, s7, s23
	s_add_u32 s13, s26, s13
	s_addc_u32 s26, 0, s27
	s_add_u32 s13, s13, s25
	s_mul_i32 s23, s7, s23
	s_addc_u32 s13, s26, s28
	s_addc_u32 s25, s29, 0
	s_add_u32 s13, s13, s23
	s_addc_u32 s23, 0, s25
	v_add_co_u32 v2, s13, v2, s13
	s_delay_alu instid0(VALU_DEP_1) | instskip(SKIP_1) | instid1(VALU_DEP_1)
	s_cmp_lg_u32 s13, 0
	s_addc_u32 s7, s7, s23
	v_readfirstlane_b32 s13, v2
	s_mul_i32 s23, s17, s7
	s_delay_alu instid0(VALU_DEP_1)
	s_mul_hi_u32 s25, s17, s13
	s_mul_i32 s19, s19, s13
	s_add_i32 s23, s25, s23
	s_mul_i32 s17, s17, s13
	s_add_i32 s23, s23, s19
	s_mul_hi_u32 s25, s7, s17
	s_mul_i32 s26, s7, s17
	s_mul_hi_u32 s17, s13, s17
	s_mul_hi_u32 s27, s13, s23
	s_mul_i32 s13, s13, s23
	s_mul_hi_u32 s19, s7, s23
	s_add_u32 s13, s17, s13
	s_addc_u32 s17, 0, s27
	s_add_u32 s13, s13, s26
	s_mul_i32 s23, s7, s23
	s_addc_u32 s13, s17, s25
	s_addc_u32 s17, s19, 0
	s_add_u32 s13, s13, s23
	s_addc_u32 s17, 0, s17
	v_add_co_u32 v2, s13, v2, s13
	s_delay_alu instid0(VALU_DEP_1) | instskip(SKIP_2) | instid1(VALU_DEP_1)
	s_cmp_lg_u32 s13, 0
	s_addc_u32 s7, s7, s17
	s_ashr_i32 s26, s15, 31
	v_readfirstlane_b32 s13, v2
	s_add_u32 s28, s14, s26
	s_mov_b32 s27, s26
	s_addc_u32 s29, s15, s26
	s_delay_alu instid0(SALU_CYCLE_1) | instskip(NEXT) | instid1(SALU_CYCLE_1)
	s_xor_b64 s[28:29], s[28:29], s[26:27]
	s_mul_i32 s17, s28, s7
	s_mul_hi_u32 s19, s28, s13
	s_mul_hi_u32 s15, s28, s7
	;; [unrolled: 1-line block ×3, first 2 shown]
	s_mul_i32 s13, s29, s13
	s_add_u32 s17, s19, s17
	s_addc_u32 s15, 0, s15
	s_mul_hi_u32 s23, s29, s7
	s_add_u32 s13, s17, s13
	s_mul_i32 s7, s29, s7
	s_addc_u32 s13, s15, s25
	s_addc_u32 s15, s23, 0
	s_add_u32 s7, s13, s7
	s_addc_u32 s13, 0, s15
	s_mul_hi_u32 s15, s2, s7
	s_mul_i32 s13, s2, s13
	s_mul_i32 s19, s2, s7
	;; [unrolled: 1-line block ×3, first 2 shown]
	s_add_i32 s13, s15, s13
	v_sub_co_u32 v2, s15, s28, s19
	s_add_i32 s13, s13, s17
	s_delay_alu instid0(SALU_CYCLE_1) | instskip(SKIP_1) | instid1(VALU_DEP_1)
	s_sub_i32 s17, s29, s13
	s_cmp_lg_u32 s15, 0
	v_sub_co_u32 v4, s19, v2, s2
	s_subb_u32 s17, s17, s3
	s_cmp_lg_u32 s19, 0
	s_subb_u32 s17, s17, 0
	s_delay_alu instid0(VALU_DEP_1)
	v_cmp_le_u32_e32 vcc_lo, s2, v4
	s_cmp_ge_u32 s17, s3
	v_cmp_le_u32_e64 s2, s2, v2
	s_cselect_b32 s19, -1, 0
	s_cmp_eq_u32 s17, s3
	v_cndmask_b32_e64 v4, 0, -1, vcc_lo
	s_cselect_b32 vcc_lo, -1, 0
	s_add_u32 s17, s7, 1
	s_add_u32 s23, s7, 2
	s_cmp_lg_u32 s15, 0
	v_mov_b32_e32 v5, s23
	v_cndmask_b32_e64 v2, 0, -1, s2
	s_subb_u32 s2, s29, s13
	v_cndmask_b32_e32 v4, s19, v4, vcc_lo
	s_cmp_ge_u32 s2, s3
	s_cselect_b32 s13, -1, 0
	s_cmp_eq_u32 s2, s3
	s_cselect_b32 vcc_lo, -1, 0
	s_xor_b64 s[2:3], s[26:27], s[20:21]
	v_cndmask_b32_e32 v2, s13, v2, vcc_lo
	v_cmp_ne_u32_e32 vcc_lo, 0, v4
	v_cndmask_b32_e32 v4, s17, v5, vcc_lo
	s_delay_alu instid0(VALU_DEP_3) | instskip(NEXT) | instid1(VALU_DEP_2)
	v_cmp_ne_u32_e32 vcc_lo, 0, v2
	v_cndmask_b32_e32 v2, s7, v4, vcc_lo
	s_delay_alu instid0(VALU_DEP_1) | instskip(NEXT) | instid1(VALU_DEP_1)
	v_xor_b32_e32 v2, s2, v2
	v_sub_co_u32 v4, vcc_lo, v2, s2
	s_load_b32 s19, s[0:1], 0x34
	s_and_not1_b32 vcc_lo, exec_lo, s18
	s_cbranch_vccnz .LBB6_10
.LBB6_9:
	v_cvt_f32_u32_e32 v2, s12
	s_sub_i32 s2, 0, s12
	s_delay_alu instid0(VALU_DEP_1) | instskip(SKIP_2) | instid1(VALU_DEP_1)
	v_rcp_iflag_f32_e32 v2, v2
	s_waitcnt_depctr 0xfff
	v_mul_f32_e32 v2, 0x4f7ffffe, v2
	v_cvt_u32_f32_e32 v2, v2
	s_delay_alu instid0(VALU_DEP_1) | instskip(NEXT) | instid1(VALU_DEP_1)
	v_mul_lo_u32 v4, s2, v2
	v_mul_hi_u32 v4, v2, v4
	s_delay_alu instid0(VALU_DEP_1) | instskip(NEXT) | instid1(VALU_DEP_1)
	v_add_nc_u32_e32 v2, v2, v4
	v_mul_hi_u32 v2, s14, v2
	s_delay_alu instid0(VALU_DEP_1) | instskip(SKIP_1) | instid1(VALU_DEP_2)
	v_mul_lo_u32 v4, v2, s12
	v_add_nc_u32_e32 v5, 1, v2
	v_sub_nc_u32_e32 v4, s14, v4
	s_delay_alu instid0(VALU_DEP_1) | instskip(SKIP_1) | instid1(VALU_DEP_2)
	v_subrev_nc_u32_e32 v6, s12, v4
	v_cmp_le_u32_e32 vcc_lo, s12, v4
	v_cndmask_b32_e32 v4, v4, v6, vcc_lo
	v_cndmask_b32_e32 v2, v2, v5, vcc_lo
	s_delay_alu instid0(VALU_DEP_2) | instskip(NEXT) | instid1(VALU_DEP_2)
	v_cmp_le_u32_e32 vcc_lo, s12, v4
	v_add_nc_u32_e32 v5, 1, v2
	s_delay_alu instid0(VALU_DEP_1)
	v_cndmask_b32_e32 v4, v2, v5, vcc_lo
.LBB6_10:
	s_load_b128 s[12:15], s[0:1], 0x0
	s_mul_i32 s0, s9, s8
	s_mul_i32 s3, s16, s4
	s_mul_hi_i32 s1, s9, s8
	s_mul_i32 s4, s0, s11
	s_mul_hi_u32 s11, s0, s10
	s_mul_i32 s1, s1, s10
	s_add_i32 s4, s11, s4
	s_mul_i32 s0, s0, s10
	s_add_i32 s1, s4, s1
	s_ashr_i32 s7, s8, 31
	s_lshl_b64 s[0:1], s[0:1], 1
	s_ashr_i32 s17, s9, 31
	s_waitcnt lgkmcnt(0)
	s_mul_i32 s19, s19, s22
	v_sub_nc_u32_e32 v7, v4, v3
	s_mov_b32 s16, s8
	s_mul_i32 s2, s6, s5
	v_cvt_f32_u32_e32 v6, s16
	v_and_b32_e32 v0, 0x3ff, v0
	s_mov_b32 s18, s9
	s_add_u32 s14, s14, s0
	s_addc_u32 s15, s15, s1
	s_ashr_i32 s20, s8, 31
	s_abs_i32 s21, s9
	s_add_i32 s0, s8, s20
	v_cvt_f32_u32_e32 v2, s21
	s_xor_b32 s22, s0, s20
	v_rcp_iflag_f32_e32 v6, v6
	v_cvt_f32_u32_e32 v5, s22
	s_sub_i32 s10, 0, s22
	v_rcp_iflag_f32_e32 v2, v2
	v_cmp_gt_u32_e64 s1, 0x7fffffff, v7
	v_add_nc_u32_e32 v3, s3, v3
	v_rcp_iflag_f32_e32 v5, v5
	v_add_nc_u32_e32 v8, 1, v7
	s_sub_i32 s3, 0, s8
	s_sub_i32 s4, 0, s21
	s_mov_b32 s23, s5
	s_and_b32 s24, s24, 0xffff
	s_ashr_i32 s25, s5, 31
	s_waitcnt_depctr 0xfff
	v_mul_f32_e32 v2, 0x4f7ffffe, v2
	v_mul_lo_u32 v4, s2, v3
	v_mov_b32_e32 v3, 0
	v_mul_f32_e32 v9, 0x4f7ffffe, v5
	v_cvt_f32_i32_e32 v7, v8
	v_max_i32_e32 v12, 1, v8
	v_cvt_u32_f32_e32 v2, v2
	v_cmp_gt_i32_e64 s0, s9, v0
	v_cvt_u32_f32_e32 v9, v9
	v_ashrrev_i32_e32 v5, 31, v4
	v_cvt_f16_f32_e32 v13, v7
	v_mul_lo_u32 v10, s4, v2
	s_ashr_i32 s26, s6, 31
	v_mul_lo_u32 v11, s10, v9
	v_lshlrev_b64 v[4:5], 1, v[4:5]
	s_mov_b32 s27, 0
	s_delay_alu instid0(VALU_DEP_3) | instskip(NEXT) | instid1(VALU_DEP_3)
	v_mul_hi_u32 v7, v2, v10
	v_mul_hi_u32 v8, v9, v11
	v_mul_f32_e32 v6, 0x4f7ffffe, v6
	s_delay_alu instid0(VALU_DEP_3) | instskip(NEXT) | instid1(VALU_DEP_3)
	v_add_nc_u32_e32 v16, v2, v7
	v_add_nc_u32_e32 v17, v9, v8
	s_delay_alu instid0(VALU_DEP_3) | instskip(NEXT) | instid1(VALU_DEP_1)
	v_cvt_u32_f32_e32 v6, v6
	v_mul_lo_u32 v14, s3, v6
	s_ashr_i32 s3, s2, 31
	s_delay_alu instid0(SALU_CYCLE_1) | instskip(NEXT) | instid1(VALU_DEP_1)
	s_lshl_b64 s[10:11], s[2:3], 1
	v_mul_hi_u32 v10, v6, v14
	v_add_co_u32 v14, vcc_lo, s12, v4
	v_add_co_ci_u32_e32 v15, vcc_lo, s13, v5, vcc_lo
	s_delay_alu instid0(VALU_DEP_3)
	v_add_nc_u32_e32 v18, v6, v10
	s_branch .LBB6_12
.LBB6_11:                               ;   in Loop: Header=BB6_12 Depth=1
	s_or_b32 exec_lo, exec_lo, s28
	v_add_nc_u32_e32 v1, s19, v1
	s_delay_alu instid0(VALU_DEP_1) | instskip(SKIP_1) | instid1(SALU_CYCLE_1)
	v_cmp_le_i32_e32 vcc_lo, s8, v1
	s_or_b32 s27, vcc_lo, s27
	s_and_not1_b32 exec_lo, exec_lo, s27
	s_cbranch_execz .LBB6_50
.LBB6_12:                               ; =>This Loop Header: Depth=1
                                        ;     Child Loop BB6_27 Depth 2
                                        ;       Child Loop BB6_38 Depth 3
                                        ;         Child Loop BB6_41 Depth 4
                                        ;           Child Loop BB6_44 Depth 5
                                        ;             Child Loop BB6_46 Depth 6
	v_ashrrev_i32_e32 v9, 31, v1
	v_mov_b32_e32 v4, v3
	s_delay_alu instid0(VALU_DEP_2) | instskip(NEXT) | instid1(VALU_DEP_1)
	v_or_b32_e32 v5, s7, v9
	v_cmp_ne_u64_e32 vcc_lo, 0, v[4:5]
                                        ; implicit-def: $vgpr4_vgpr5
	s_and_saveexec_b32 s2, vcc_lo
	s_delay_alu instid0(SALU_CYCLE_1)
	s_xor_b32 s2, exec_lo, s2
	s_cbranch_execz .LBB6_14
; %bb.13:                               ;   in Loop: Header=BB6_12 Depth=1
	v_ashrrev_i32_e32 v2, 31, v1
	s_delay_alu instid0(VALU_DEP_1) | instskip(NEXT) | instid1(VALU_DEP_1)
	v_add_nc_u32_e32 v4, v1, v2
	v_xor_b32_e32 v4, v4, v2
	v_xor_b32_e32 v2, s20, v2
	s_delay_alu instid0(VALU_DEP_2) | instskip(NEXT) | instid1(VALU_DEP_1)
	v_mul_hi_u32 v5, v4, v17
	v_mul_lo_u32 v6, v5, s22
	s_delay_alu instid0(VALU_DEP_1) | instskip(SKIP_1) | instid1(VALU_DEP_2)
	v_sub_nc_u32_e32 v4, v4, v6
	v_add_nc_u32_e32 v6, 1, v5
	v_subrev_nc_u32_e32 v7, s22, v4
	v_cmp_le_u32_e32 vcc_lo, s22, v4
	s_delay_alu instid0(VALU_DEP_2) | instskip(NEXT) | instid1(VALU_DEP_1)
	v_dual_cndmask_b32 v4, v4, v7 :: v_dual_cndmask_b32 v5, v5, v6
	v_cmp_le_u32_e32 vcc_lo, s22, v4
	s_delay_alu instid0(VALU_DEP_2) | instskip(NEXT) | instid1(VALU_DEP_1)
	v_add_nc_u32_e32 v6, 1, v5
	v_cndmask_b32_e32 v4, v5, v6, vcc_lo
	s_delay_alu instid0(VALU_DEP_1) | instskip(NEXT) | instid1(VALU_DEP_1)
	v_xor_b32_e32 v4, v4, v2
	v_sub_nc_u32_e32 v4, v4, v2
	s_delay_alu instid0(VALU_DEP_1)
	v_ashrrev_i32_e32 v5, 31, v4
.LBB6_14:                               ;   in Loop: Header=BB6_12 Depth=1
	s_and_not1_saveexec_b32 s2, s2
	s_cbranch_execz .LBB6_16
; %bb.15:                               ;   in Loop: Header=BB6_12 Depth=1
	v_mul_hi_u32 v2, v1, v18
	s_delay_alu instid0(VALU_DEP_1) | instskip(SKIP_1) | instid1(VALU_DEP_2)
	v_mul_lo_u32 v4, v2, s16
	v_add_nc_u32_e32 v5, 1, v2
	v_sub_nc_u32_e32 v4, v1, v4
	s_delay_alu instid0(VALU_DEP_1) | instskip(SKIP_1) | instid1(VALU_DEP_2)
	v_subrev_nc_u32_e32 v6, s16, v4
	v_cmp_le_u32_e32 vcc_lo, s16, v4
	v_cndmask_b32_e32 v4, v4, v6, vcc_lo
	v_cndmask_b32_e32 v2, v2, v5, vcc_lo
	s_delay_alu instid0(VALU_DEP_2) | instskip(NEXT) | instid1(VALU_DEP_2)
	v_cmp_le_u32_e32 vcc_lo, s16, v4
	v_add_nc_u32_e32 v5, 1, v2
	s_delay_alu instid0(VALU_DEP_1) | instskip(NEXT) | instid1(VALU_DEP_1)
	v_cndmask_b32_e32 v2, v2, v5, vcc_lo
	v_dual_mov_b32 v5, v3 :: v_dual_mov_b32 v4, v2
.LBB6_16:                               ;   in Loop: Header=BB6_12 Depth=1
	s_or_b32 exec_lo, exec_lo, s2
	s_delay_alu instid0(VALU_DEP_1) | instskip(NEXT) | instid1(VALU_DEP_2)
	v_mul_lo_u32 v2, v5, s16
	v_mul_lo_u32 v7, v4, s7
	v_mad_u64_u32 v[5:6], null, v4, s16, 0
	s_delay_alu instid0(VALU_DEP_1) | instskip(NEXT) | instid1(VALU_DEP_2)
	v_add3_u32 v2, v6, v7, v2
	v_sub_co_u32 v5, vcc_lo, v1, v5
	s_delay_alu instid0(VALU_DEP_2) | instskip(NEXT) | instid1(VALU_DEP_2)
	v_sub_co_ci_u32_e32 v2, vcc_lo, v9, v2, vcc_lo
	v_mul_lo_u32 v6, v5, s25
	v_mad_u64_u32 v[7:8], null, v5, s23, 0
	s_delay_alu instid0(VALU_DEP_3) | instskip(SKIP_1) | instid1(VALU_DEP_2)
	v_mul_lo_u32 v2, v2, s23
	v_mov_b32_e32 v5, v3
	v_add3_u32 v8, v8, v6, v2
	s_delay_alu instid0(VALU_DEP_1) | instskip(NEXT) | instid1(VALU_DEP_1)
	v_or_b32_e32 v6, s7, v8
	v_cmp_ne_u64_e32 vcc_lo, 0, v[5:6]
                                        ; implicit-def: $vgpr5_vgpr6
	s_and_saveexec_b32 s2, vcc_lo
	s_delay_alu instid0(SALU_CYCLE_1)
	s_xor_b32 s3, exec_lo, s2
	s_cbranch_execz .LBB6_18
; %bb.17:                               ;   in Loop: Header=BB6_12 Depth=1
	s_add_u32 s12, s16, s7
	s_mov_b32 s4, s7
	s_mov_b32 s5, s7
	s_addc_u32 s13, s7, s7
	s_delay_alu instid0(SALU_CYCLE_1) | instskip(NEXT) | instid1(SALU_CYCLE_1)
	s_xor_b64 s[12:13], s[12:13], s[4:5]
	v_cvt_f32_u32_e32 v2, s12
	v_cvt_f32_u32_e32 v5, s13
	s_sub_u32 s2, 0, s12
	s_subb_u32 s5, 0, s13
	s_delay_alu instid0(VALU_DEP_1) | instskip(NEXT) | instid1(VALU_DEP_1)
	v_fmac_f32_e32 v2, 0x4f800000, v5
	v_rcp_f32_e32 v2, v2
	s_waitcnt_depctr 0xfff
	v_mul_f32_e32 v2, 0x5f7ffffc, v2
	s_delay_alu instid0(VALU_DEP_1) | instskip(NEXT) | instid1(VALU_DEP_1)
	v_mul_f32_e32 v5, 0x2f800000, v2
	v_trunc_f32_e32 v5, v5
	s_delay_alu instid0(VALU_DEP_1) | instskip(SKIP_1) | instid1(VALU_DEP_2)
	v_fmac_f32_e32 v2, 0xcf800000, v5
	v_cvt_u32_f32_e32 v5, v5
	v_cvt_u32_f32_e32 v2, v2
	s_delay_alu instid0(VALU_DEP_2) | instskip(NEXT) | instid1(VALU_DEP_2)
	v_mul_lo_u32 v6, s2, v5
	v_mul_hi_u32 v10, s2, v2
	v_mul_lo_u32 v11, s5, v2
	s_delay_alu instid0(VALU_DEP_2) | instskip(SKIP_1) | instid1(VALU_DEP_2)
	v_add_nc_u32_e32 v6, v10, v6
	v_mul_lo_u32 v10, s2, v2
	v_add_nc_u32_e32 v6, v6, v11
	s_delay_alu instid0(VALU_DEP_2) | instskip(NEXT) | instid1(VALU_DEP_2)
	v_mul_hi_u32 v11, v2, v10
	v_mul_lo_u32 v19, v2, v6
	v_mul_hi_u32 v20, v2, v6
	v_mul_hi_u32 v21, v5, v10
	v_mul_lo_u32 v10, v5, v10
	v_mul_hi_u32 v22, v5, v6
	v_mul_lo_u32 v6, v5, v6
	v_add_co_u32 v11, vcc_lo, v11, v19
	v_add_co_ci_u32_e32 v19, vcc_lo, 0, v20, vcc_lo
	s_delay_alu instid0(VALU_DEP_2) | instskip(NEXT) | instid1(VALU_DEP_2)
	v_add_co_u32 v10, vcc_lo, v11, v10
	v_add_co_ci_u32_e32 v10, vcc_lo, v19, v21, vcc_lo
	v_add_co_ci_u32_e32 v11, vcc_lo, 0, v22, vcc_lo
	v_ashrrev_i32_e32 v21, 31, v8
	s_delay_alu instid0(VALU_DEP_3) | instskip(NEXT) | instid1(VALU_DEP_3)
	v_add_co_u32 v6, vcc_lo, v10, v6
	v_add_co_ci_u32_e32 v10, vcc_lo, 0, v11, vcc_lo
	s_delay_alu instid0(VALU_DEP_2) | instskip(NEXT) | instid1(VALU_DEP_2)
	v_add_co_u32 v2, vcc_lo, v2, v6
	v_add_co_ci_u32_e32 v5, vcc_lo, v5, v10, vcc_lo
	s_delay_alu instid0(VALU_DEP_2) | instskip(SKIP_1) | instid1(VALU_DEP_3)
	v_mul_hi_u32 v6, s2, v2
	v_mul_lo_u32 v11, s5, v2
	v_mul_lo_u32 v10, s2, v5
	s_delay_alu instid0(VALU_DEP_1) | instskip(SKIP_1) | instid1(VALU_DEP_2)
	v_add_nc_u32_e32 v6, v6, v10
	v_mul_lo_u32 v10, s2, v2
	v_add_nc_u32_e32 v6, v6, v11
	s_delay_alu instid0(VALU_DEP_2) | instskip(NEXT) | instid1(VALU_DEP_2)
	v_mul_hi_u32 v11, v2, v10
	v_mul_lo_u32 v19, v2, v6
	v_mul_hi_u32 v20, v2, v6
	v_mul_hi_u32 v22, v5, v10
	v_mul_lo_u32 v10, v5, v10
	v_mul_hi_u32 v23, v5, v6
	v_mul_lo_u32 v6, v5, v6
	v_add_co_u32 v11, vcc_lo, v11, v19
	v_add_co_ci_u32_e32 v19, vcc_lo, 0, v20, vcc_lo
	s_delay_alu instid0(VALU_DEP_2) | instskip(NEXT) | instid1(VALU_DEP_2)
	v_add_co_u32 v10, vcc_lo, v11, v10
	v_add_co_ci_u32_e32 v10, vcc_lo, v19, v22, vcc_lo
	v_add_co_ci_u32_e32 v11, vcc_lo, 0, v23, vcc_lo
	v_add_co_u32 v7, vcc_lo, v7, v21
	v_add_co_ci_u32_e32 v8, vcc_lo, v8, v21, vcc_lo
	s_delay_alu instid0(VALU_DEP_4) | instskip(NEXT) | instid1(VALU_DEP_4)
	v_add_co_u32 v6, vcc_lo, v10, v6
	v_add_co_ci_u32_e32 v10, vcc_lo, 0, v11, vcc_lo
	s_delay_alu instid0(VALU_DEP_4) | instskip(NEXT) | instid1(VALU_DEP_3)
	v_xor_b32_e32 v19, v7, v21
	v_add_co_u32 v2, vcc_lo, v2, v6
	s_delay_alu instid0(VALU_DEP_3) | instskip(SKIP_1) | instid1(VALU_DEP_3)
	v_add_co_ci_u32_e32 v20, vcc_lo, v5, v10, vcc_lo
	v_xor_b32_e32 v22, v8, v21
	v_mul_hi_u32 v23, v19, v2
	s_delay_alu instid0(VALU_DEP_3) | instskip(NEXT) | instid1(VALU_DEP_3)
	v_mad_u64_u32 v[5:6], null, v19, v20, 0
	v_mad_u64_u32 v[7:8], null, v22, v2, 0
	;; [unrolled: 1-line block ×3, first 2 shown]
	s_delay_alu instid0(VALU_DEP_3) | instskip(NEXT) | instid1(VALU_DEP_4)
	v_add_co_u32 v2, vcc_lo, v23, v5
	v_add_co_ci_u32_e32 v5, vcc_lo, 0, v6, vcc_lo
	s_delay_alu instid0(VALU_DEP_2) | instskip(NEXT) | instid1(VALU_DEP_2)
	v_add_co_u32 v2, vcc_lo, v2, v7
	v_add_co_ci_u32_e32 v2, vcc_lo, v5, v8, vcc_lo
	v_add_co_ci_u32_e32 v5, vcc_lo, 0, v11, vcc_lo
	s_delay_alu instid0(VALU_DEP_2) | instskip(NEXT) | instid1(VALU_DEP_2)
	v_add_co_u32 v2, vcc_lo, v2, v10
	v_add_co_ci_u32_e32 v7, vcc_lo, 0, v5, vcc_lo
	s_delay_alu instid0(VALU_DEP_2) | instskip(SKIP_1) | instid1(VALU_DEP_3)
	v_mul_lo_u32 v8, s13, v2
	v_mad_u64_u32 v[5:6], null, s12, v2, 0
	v_mul_lo_u32 v7, s12, v7
	s_delay_alu instid0(VALU_DEP_2) | instskip(NEXT) | instid1(VALU_DEP_2)
	v_sub_co_u32 v5, vcc_lo, v19, v5
	v_add3_u32 v6, v6, v7, v8
	v_add_co_u32 v8, s2, v2, 2
	s_delay_alu instid0(VALU_DEP_2) | instskip(NEXT) | instid1(VALU_DEP_1)
	v_sub_nc_u32_e32 v7, v22, v6
	v_subrev_co_ci_u32_e64 v7, s2, s13, v7, vcc_lo
	v_sub_co_u32 v10, s2, v5, s12
	v_sub_co_ci_u32_e32 v6, vcc_lo, v22, v6, vcc_lo
	s_delay_alu instid0(VALU_DEP_3) | instskip(NEXT) | instid1(VALU_DEP_3)
	v_subrev_co_ci_u32_e64 v7, s2, 0, v7, s2
	v_cmp_le_u32_e32 vcc_lo, s12, v10
	v_cndmask_b32_e64 v10, 0, -1, vcc_lo
	s_delay_alu instid0(VALU_DEP_3)
	v_cmp_le_u32_e32 vcc_lo, s13, v7
	v_cndmask_b32_e64 v11, 0, -1, vcc_lo
	v_cmp_le_u32_e32 vcc_lo, s12, v5
	v_cndmask_b32_e64 v5, 0, -1, vcc_lo
	;; [unrolled: 2-line block ×3, first 2 shown]
	v_cmp_eq_u32_e32 vcc_lo, s13, v7
	v_cndmask_b32_e32 v7, v11, v10, vcc_lo
	v_add_co_u32 v10, vcc_lo, v2, 1
	v_cmp_eq_u32_e32 vcc_lo, s13, v6
	v_cndmask_b32_e32 v5, v19, v5, vcc_lo
	s_delay_alu instid0(VALU_DEP_4) | instskip(NEXT) | instid1(VALU_DEP_4)
	v_cmp_ne_u32_e32 vcc_lo, 0, v7
	v_cndmask_b32_e32 v6, v10, v8, vcc_lo
	s_delay_alu instid0(VALU_DEP_3) | instskip(SKIP_1) | instid1(VALU_DEP_3)
	v_cmp_ne_u32_e32 vcc_lo, 0, v5
	v_xor_b32_e32 v5, s4, v21
                                        ; implicit-def: $vgpr7_vgpr8
	v_cndmask_b32_e32 v2, v2, v6, vcc_lo
	s_delay_alu instid0(VALU_DEP_1) | instskip(NEXT) | instid1(VALU_DEP_1)
	v_xor_b32_e32 v2, v2, v5
	v_sub_co_u32 v5, vcc_lo, v2, v5
.LBB6_18:                               ;   in Loop: Header=BB6_12 Depth=1
	s_and_not1_saveexec_b32 s2, s3
; %bb.19:                               ;   in Loop: Header=BB6_12 Depth=1
	v_mul_hi_u32 v2, v7, v18
	s_delay_alu instid0(VALU_DEP_1) | instskip(NEXT) | instid1(VALU_DEP_1)
	v_mul_lo_u32 v5, v2, s16
	v_sub_nc_u32_e32 v5, v7, v5
	s_delay_alu instid0(VALU_DEP_1) | instskip(SKIP_1) | instid1(VALU_DEP_2)
	v_subrev_nc_u32_e32 v7, s16, v5
	v_cmp_le_u32_e32 vcc_lo, s16, v5
	v_dual_cndmask_b32 v5, v5, v7 :: v_dual_add_nc_u32 v6, 1, v2
	s_delay_alu instid0(VALU_DEP_1) | instskip(NEXT) | instid1(VALU_DEP_2)
	v_cndmask_b32_e32 v2, v2, v6, vcc_lo
	v_cmp_le_u32_e32 vcc_lo, s16, v5
	s_delay_alu instid0(VALU_DEP_2) | instskip(NEXT) | instid1(VALU_DEP_1)
	v_add_nc_u32_e32 v6, 1, v2
	v_cndmask_b32_e32 v5, v2, v6, vcc_lo
; %bb.20:                               ;   in Loop: Header=BB6_12 Depth=1
	s_or_b32 exec_lo, exec_lo, s2
	v_add_co_u32 v2, vcc_lo, v1, 1
	v_add_co_ci_u32_e32 v6, vcc_lo, 0, v9, vcc_lo
	s_delay_alu instid0(VALU_DEP_2) | instskip(NEXT) | instid1(VALU_DEP_2)
	v_mul_lo_u32 v8, v2, s25
	v_mul_lo_u32 v9, v6, s23
	v_mad_u64_u32 v[6:7], null, v2, s23, -1
	s_delay_alu instid0(VALU_DEP_1) | instskip(SKIP_1) | instid1(VALU_DEP_2)
	v_add3_u32 v7, v9, v7, v8
	v_mov_b32_e32 v8, v3
	v_or_b32_e32 v9, s7, v7
	s_delay_alu instid0(VALU_DEP_1) | instskip(SKIP_1) | instid1(SALU_CYCLE_1)
	v_cmp_ne_u64_e32 vcc_lo, 0, v[8:9]
                                        ; implicit-def: $vgpr8_vgpr9
	s_and_saveexec_b32 s2, vcc_lo
	s_xor_b32 s3, exec_lo, s2
	s_cbranch_execnz .LBB6_23
; %bb.21:                               ;   in Loop: Header=BB6_12 Depth=1
	s_and_not1_saveexec_b32 s2, s3
	s_cbranch_execnz .LBB6_24
.LBB6_22:                               ;   in Loop: Header=BB6_12 Depth=1
	s_or_b32 exec_lo, exec_lo, s2
	s_and_saveexec_b32 s28, s0
	s_cbranch_execz .LBB6_11
	s_branch .LBB6_25
.LBB6_23:                               ;   in Loop: Header=BB6_12 Depth=1
	s_add_u32 s12, s16, s7
	s_mov_b32 s4, s7
	s_mov_b32 s5, s7
	s_addc_u32 s13, s7, s7
	s_delay_alu instid0(SALU_CYCLE_1) | instskip(NEXT) | instid1(SALU_CYCLE_1)
	s_xor_b64 s[12:13], s[12:13], s[4:5]
	v_cvt_f32_u32_e32 v2, s12
	v_cvt_f32_u32_e32 v8, s13
	s_sub_u32 s2, 0, s12
	s_subb_u32 s5, 0, s13
	s_delay_alu instid0(VALU_DEP_1) | instskip(NEXT) | instid1(VALU_DEP_1)
	v_fmac_f32_e32 v2, 0x4f800000, v8
	v_rcp_f32_e32 v2, v2
	s_waitcnt_depctr 0xfff
	v_mul_f32_e32 v2, 0x5f7ffffc, v2
	s_delay_alu instid0(VALU_DEP_1) | instskip(NEXT) | instid1(VALU_DEP_1)
	v_mul_f32_e32 v8, 0x2f800000, v2
	v_trunc_f32_e32 v8, v8
	s_delay_alu instid0(VALU_DEP_1) | instskip(SKIP_1) | instid1(VALU_DEP_2)
	v_fmac_f32_e32 v2, 0xcf800000, v8
	v_cvt_u32_f32_e32 v8, v8
	v_cvt_u32_f32_e32 v2, v2
	s_delay_alu instid0(VALU_DEP_2) | instskip(NEXT) | instid1(VALU_DEP_2)
	v_mul_lo_u32 v9, s2, v8
	v_mul_hi_u32 v10, s2, v2
	v_mul_lo_u32 v11, s5, v2
	s_delay_alu instid0(VALU_DEP_2) | instskip(SKIP_1) | instid1(VALU_DEP_2)
	v_add_nc_u32_e32 v9, v10, v9
	v_mul_lo_u32 v10, s2, v2
	v_add_nc_u32_e32 v9, v9, v11
	s_delay_alu instid0(VALU_DEP_2) | instskip(NEXT) | instid1(VALU_DEP_2)
	v_mul_hi_u32 v11, v2, v10
	v_mul_lo_u32 v19, v2, v9
	v_mul_hi_u32 v20, v2, v9
	v_mul_hi_u32 v21, v8, v10
	v_mul_lo_u32 v10, v8, v10
	v_mul_hi_u32 v22, v8, v9
	v_mul_lo_u32 v9, v8, v9
	v_add_co_u32 v11, vcc_lo, v11, v19
	v_add_co_ci_u32_e32 v19, vcc_lo, 0, v20, vcc_lo
	s_delay_alu instid0(VALU_DEP_2) | instskip(NEXT) | instid1(VALU_DEP_2)
	v_add_co_u32 v10, vcc_lo, v11, v10
	v_add_co_ci_u32_e32 v10, vcc_lo, v19, v21, vcc_lo
	v_add_co_ci_u32_e32 v11, vcc_lo, 0, v22, vcc_lo
	v_ashrrev_i32_e32 v21, 31, v7
	s_delay_alu instid0(VALU_DEP_3) | instskip(NEXT) | instid1(VALU_DEP_3)
	v_add_co_u32 v9, vcc_lo, v10, v9
	v_add_co_ci_u32_e32 v10, vcc_lo, 0, v11, vcc_lo
	s_delay_alu instid0(VALU_DEP_2) | instskip(NEXT) | instid1(VALU_DEP_2)
	v_add_co_u32 v2, vcc_lo, v2, v9
	v_add_co_ci_u32_e32 v8, vcc_lo, v8, v10, vcc_lo
	s_delay_alu instid0(VALU_DEP_2) | instskip(SKIP_1) | instid1(VALU_DEP_3)
	v_mul_hi_u32 v9, s2, v2
	v_mul_lo_u32 v11, s5, v2
	v_mul_lo_u32 v10, s2, v8
	s_delay_alu instid0(VALU_DEP_1) | instskip(SKIP_1) | instid1(VALU_DEP_2)
	v_add_nc_u32_e32 v9, v9, v10
	v_mul_lo_u32 v10, s2, v2
	v_add_nc_u32_e32 v9, v9, v11
	s_delay_alu instid0(VALU_DEP_2) | instskip(NEXT) | instid1(VALU_DEP_2)
	v_mul_hi_u32 v11, v2, v10
	v_mul_lo_u32 v19, v2, v9
	v_mul_hi_u32 v20, v2, v9
	v_mul_hi_u32 v22, v8, v10
	v_mul_lo_u32 v10, v8, v10
	v_mul_hi_u32 v23, v8, v9
	v_mul_lo_u32 v9, v8, v9
	v_add_co_u32 v11, vcc_lo, v11, v19
	v_add_co_ci_u32_e32 v19, vcc_lo, 0, v20, vcc_lo
	s_delay_alu instid0(VALU_DEP_2) | instskip(NEXT) | instid1(VALU_DEP_2)
	v_add_co_u32 v10, vcc_lo, v11, v10
	v_add_co_ci_u32_e32 v10, vcc_lo, v19, v22, vcc_lo
	v_add_co_ci_u32_e32 v11, vcc_lo, 0, v23, vcc_lo
	v_add_co_u32 v6, vcc_lo, v6, v21
	v_add_co_ci_u32_e32 v7, vcc_lo, v7, v21, vcc_lo
	s_delay_alu instid0(VALU_DEP_4) | instskip(NEXT) | instid1(VALU_DEP_4)
	v_add_co_u32 v9, vcc_lo, v10, v9
	v_add_co_ci_u32_e32 v10, vcc_lo, 0, v11, vcc_lo
	s_delay_alu instid0(VALU_DEP_4) | instskip(NEXT) | instid1(VALU_DEP_3)
	v_xor_b32_e32 v19, v6, v21
	v_add_co_u32 v2, vcc_lo, v2, v9
	s_delay_alu instid0(VALU_DEP_3) | instskip(SKIP_1) | instid1(VALU_DEP_3)
	v_add_co_ci_u32_e32 v20, vcc_lo, v8, v10, vcc_lo
	v_xor_b32_e32 v22, v7, v21
	v_mul_hi_u32 v23, v19, v2
	s_delay_alu instid0(VALU_DEP_3) | instskip(NEXT) | instid1(VALU_DEP_3)
	v_mad_u64_u32 v[6:7], null, v19, v20, 0
	v_mad_u64_u32 v[8:9], null, v22, v2, 0
	;; [unrolled: 1-line block ×3, first 2 shown]
	s_delay_alu instid0(VALU_DEP_3) | instskip(NEXT) | instid1(VALU_DEP_4)
	v_add_co_u32 v2, vcc_lo, v23, v6
	v_add_co_ci_u32_e32 v6, vcc_lo, 0, v7, vcc_lo
	s_delay_alu instid0(VALU_DEP_2) | instskip(NEXT) | instid1(VALU_DEP_2)
	v_add_co_u32 v2, vcc_lo, v2, v8
	v_add_co_ci_u32_e32 v2, vcc_lo, v6, v9, vcc_lo
	v_add_co_ci_u32_e32 v6, vcc_lo, 0, v11, vcc_lo
	s_delay_alu instid0(VALU_DEP_2) | instskip(NEXT) | instid1(VALU_DEP_2)
	v_add_co_u32 v2, vcc_lo, v2, v10
	v_add_co_ci_u32_e32 v8, vcc_lo, 0, v6, vcc_lo
	s_delay_alu instid0(VALU_DEP_2) | instskip(SKIP_1) | instid1(VALU_DEP_3)
	v_mul_lo_u32 v9, s13, v2
	v_mad_u64_u32 v[6:7], null, s12, v2, 0
	v_mul_lo_u32 v8, s12, v8
	s_delay_alu instid0(VALU_DEP_2) | instskip(NEXT) | instid1(VALU_DEP_2)
	v_sub_co_u32 v6, vcc_lo, v19, v6
	v_add3_u32 v7, v7, v8, v9
	v_add_co_u32 v9, s2, v2, 2
	s_delay_alu instid0(VALU_DEP_2) | instskip(NEXT) | instid1(VALU_DEP_1)
	v_sub_nc_u32_e32 v8, v22, v7
	v_subrev_co_ci_u32_e64 v8, s2, s13, v8, vcc_lo
	v_sub_co_u32 v10, s2, v6, s12
	v_sub_co_ci_u32_e32 v7, vcc_lo, v22, v7, vcc_lo
	s_delay_alu instid0(VALU_DEP_3) | instskip(NEXT) | instid1(VALU_DEP_3)
	v_subrev_co_ci_u32_e64 v8, s2, 0, v8, s2
	v_cmp_le_u32_e32 vcc_lo, s12, v10
	v_cndmask_b32_e64 v10, 0, -1, vcc_lo
	s_delay_alu instid0(VALU_DEP_3)
	v_cmp_le_u32_e32 vcc_lo, s13, v8
	v_cndmask_b32_e64 v11, 0, -1, vcc_lo
	v_cmp_le_u32_e32 vcc_lo, s12, v6
	v_cndmask_b32_e64 v6, 0, -1, vcc_lo
	;; [unrolled: 2-line block ×3, first 2 shown]
	v_cmp_eq_u32_e32 vcc_lo, s13, v8
	v_cndmask_b32_e32 v8, v11, v10, vcc_lo
	v_add_co_u32 v10, vcc_lo, v2, 1
	v_cmp_eq_u32_e32 vcc_lo, s13, v7
	v_cndmask_b32_e32 v6, v19, v6, vcc_lo
	s_delay_alu instid0(VALU_DEP_4) | instskip(NEXT) | instid1(VALU_DEP_4)
	v_cmp_ne_u32_e32 vcc_lo, 0, v8
	v_cndmask_b32_e32 v7, v10, v9, vcc_lo
	s_delay_alu instid0(VALU_DEP_3) | instskip(SKIP_1) | instid1(VALU_DEP_3)
	v_cmp_ne_u32_e32 vcc_lo, 0, v6
	v_xor_b32_e32 v6, s4, v21
	v_cndmask_b32_e32 v2, v2, v7, vcc_lo
	s_delay_alu instid0(VALU_DEP_1) | instskip(NEXT) | instid1(VALU_DEP_1)
	v_xor_b32_e32 v2, v2, v6
	v_sub_co_u32 v8, vcc_lo, v2, v6
                                        ; implicit-def: $vgpr6_vgpr7
	s_and_not1_saveexec_b32 s2, s3
	s_cbranch_execz .LBB6_22
.LBB6_24:                               ;   in Loop: Header=BB6_12 Depth=1
	v_mul_hi_u32 v2, v6, v18
	s_delay_alu instid0(VALU_DEP_1) | instskip(NEXT) | instid1(VALU_DEP_1)
	v_mul_lo_u32 v7, v2, s16
	v_sub_nc_u32_e32 v6, v6, v7
	s_delay_alu instid0(VALU_DEP_1) | instskip(SKIP_1) | instid1(VALU_DEP_2)
	v_subrev_nc_u32_e32 v8, s16, v6
	v_cmp_le_u32_e32 vcc_lo, s16, v6
	v_dual_cndmask_b32 v6, v6, v8 :: v_dual_add_nc_u32 v7, 1, v2
	s_delay_alu instid0(VALU_DEP_1) | instskip(NEXT) | instid1(VALU_DEP_2)
	v_cndmask_b32_e32 v2, v2, v7, vcc_lo
	v_cmp_le_u32_e32 vcc_lo, s16, v6
	s_delay_alu instid0(VALU_DEP_2) | instskip(NEXT) | instid1(VALU_DEP_1)
	v_add_nc_u32_e32 v7, 1, v2
	v_cndmask_b32_e32 v8, v2, v7, vcc_lo
	s_or_b32 exec_lo, exec_lo, s2
	s_and_saveexec_b32 s28, s0
	s_cbranch_execz .LBB6_11
.LBB6_25:                               ;   in Loop: Header=BB6_12 Depth=1
	v_mad_u64_u32 v[6:7], null, v4, s23, v[5:6]
	v_mul_lo_u32 v4, v1, s9
	s_mov_b32 s29, 0
	s_delay_alu instid0(VALU_DEP_2) | instskip(SKIP_1) | instid1(VALU_DEP_3)
	v_mul_lo_u32 v7, v6, s6
	v_sub_nc_u32_e32 v2, v8, v6
	v_ashrrev_i32_e32 v5, 31, v4
	s_delay_alu instid0(VALU_DEP_2) | instskip(NEXT) | instid1(VALU_DEP_2)
	v_add_nc_u32_e32 v19, 1, v2
	v_lshlrev_b64 v[4:5], 1, v[4:5]
	v_ashrrev_i32_e32 v8, 31, v7
	s_delay_alu instid0(VALU_DEP_2) | instskip(SKIP_1) | instid1(VALU_DEP_3)
	v_add_co_u32 v20, vcc_lo, s14, v4
	v_mov_b32_e32 v4, v0
	v_lshlrev_b64 v[6:7], 1, v[7:8]
	v_cvt_f32_i32_e32 v2, v19
	v_add_co_ci_u32_e32 v21, vcc_lo, s15, v5, vcc_lo
	v_cmp_lt_i32_e64 s2, 0, v19
	s_delay_alu instid0(VALU_DEP_4) | instskip(NEXT) | instid1(VALU_DEP_4)
	v_add_co_u32 v23, vcc_lo, v14, v6
	v_cvt_f16_f32_e32 v22, v2
	v_add_co_ci_u32_e32 v24, vcc_lo, v15, v7, vcc_lo
	s_branch .LBB6_27
.LBB6_26:                               ;   in Loop: Header=BB6_27 Depth=2
	v_add_nc_u32_e32 v4, s24, v4
	s_delay_alu instid0(VALU_DEP_1) | instskip(SKIP_1) | instid1(SALU_CYCLE_1)
	v_cmp_le_i32_e32 vcc_lo, s9, v4
	s_or_b32 s29, vcc_lo, s29
	s_and_not1_b32 exec_lo, exec_lo, s29
	s_cbranch_execz .LBB6_11
.LBB6_27:                               ;   Parent Loop BB6_12 Depth=1
                                        ; =>  This Loop Header: Depth=2
                                        ;       Child Loop BB6_38 Depth 3
                                        ;         Child Loop BB6_41 Depth 4
                                        ;           Child Loop BB6_44 Depth 5
                                        ;             Child Loop BB6_46 Depth 6
	v_mul_hi_u32 v2, v4, v16
	s_delay_alu instid0(VALU_DEP_1) | instskip(NEXT) | instid1(VALU_DEP_1)
	v_mul_lo_u32 v5, v2, s21
	v_sub_nc_u32_e32 v5, v4, v5
	s_delay_alu instid0(VALU_DEP_1) | instskip(SKIP_1) | instid1(VALU_DEP_2)
	v_subrev_nc_u32_e32 v7, s21, v5
	v_cmp_le_u32_e32 vcc_lo, s21, v5
	v_dual_cndmask_b32 v5, v5, v7 :: v_dual_add_nc_u32 v6, 1, v2
	s_delay_alu instid0(VALU_DEP_1) | instskip(NEXT) | instid1(VALU_DEP_2)
	v_cndmask_b32_e32 v2, v2, v6, vcc_lo
	v_cmp_le_u32_e32 vcc_lo, s21, v5
	s_delay_alu instid0(VALU_DEP_2) | instskip(NEXT) | instid1(VALU_DEP_1)
	v_add_nc_u32_e32 v6, 1, v2
	v_cndmask_b32_e32 v2, v2, v6, vcc_lo
	s_delay_alu instid0(VALU_DEP_1) | instskip(NEXT) | instid1(VALU_DEP_1)
	v_xor_b32_e32 v2, s17, v2
	v_subrev_nc_u32_e32 v25, s17, v2
	s_delay_alu instid0(VALU_DEP_1) | instskip(NEXT) | instid1(VALU_DEP_1)
	v_mad_i64_i32 v[5:6], null, v25, s18, 0
	v_sub_co_u32 v2, vcc_lo, v4, v5
	s_delay_alu instid0(VALU_DEP_2) | instskip(NEXT) | instid1(VALU_DEP_2)
	v_sub_co_ci_u32_e32 v5, vcc_lo, 0, v6, vcc_lo
	v_mul_lo_u32 v6, v2, s26
	v_mad_u64_u32 v[8:9], null, v2, s6, 0
	s_delay_alu instid0(VALU_DEP_3) | instskip(NEXT) | instid1(VALU_DEP_1)
	v_mul_lo_u32 v5, v5, s6
	v_add3_u32 v9, v9, v6, v5
	v_mov_b32_e32 v5, v3
	s_delay_alu instid0(VALU_DEP_2) | instskip(NEXT) | instid1(VALU_DEP_1)
	v_or_b32_e32 v6, s17, v9
	v_cmp_ne_u64_e32 vcc_lo, 0, v[5:6]
                                        ; implicit-def: $vgpr6_vgpr7
	s_and_saveexec_b32 s3, vcc_lo
	s_delay_alu instid0(SALU_CYCLE_1)
	s_xor_b32 s30, exec_lo, s3
	s_cbranch_execz .LBB6_29
; %bb.28:                               ;   in Loop: Header=BB6_27 Depth=2
	s_add_u32 s12, s18, s17
	s_mov_b32 s4, s17
	s_mov_b32 s5, s17
	s_addc_u32 s13, s17, s17
	s_delay_alu instid0(SALU_CYCLE_1) | instskip(NEXT) | instid1(SALU_CYCLE_1)
	s_xor_b64 s[12:13], s[12:13], s[4:5]
	v_cvt_f32_u32_e32 v2, s12
	v_cvt_f32_u32_e32 v6, s13
	s_sub_u32 s3, 0, s12
	s_subb_u32 s31, 0, s13
	s_delay_alu instid0(VALU_DEP_1) | instskip(NEXT) | instid1(VALU_DEP_1)
	v_fmac_f32_e32 v2, 0x4f800000, v6
	v_rcp_f32_e32 v2, v2
	s_waitcnt_depctr 0xfff
	v_mul_f32_e32 v2, 0x5f7ffffc, v2
	s_delay_alu instid0(VALU_DEP_1) | instskip(NEXT) | instid1(VALU_DEP_1)
	v_mul_f32_e32 v6, 0x2f800000, v2
	v_trunc_f32_e32 v6, v6
	s_delay_alu instid0(VALU_DEP_1) | instskip(SKIP_1) | instid1(VALU_DEP_2)
	v_fmac_f32_e32 v2, 0xcf800000, v6
	v_cvt_u32_f32_e32 v6, v6
	v_cvt_u32_f32_e32 v2, v2
	s_delay_alu instid0(VALU_DEP_2) | instskip(NEXT) | instid1(VALU_DEP_2)
	v_mul_lo_u32 v7, s3, v6
	v_mul_hi_u32 v10, s3, v2
	v_mul_lo_u32 v11, s31, v2
	s_delay_alu instid0(VALU_DEP_2) | instskip(SKIP_1) | instid1(VALU_DEP_2)
	v_add_nc_u32_e32 v7, v10, v7
	v_mul_lo_u32 v10, s3, v2
	v_add_nc_u32_e32 v7, v7, v11
	s_delay_alu instid0(VALU_DEP_2) | instskip(NEXT) | instid1(VALU_DEP_2)
	v_mul_hi_u32 v11, v2, v10
	v_mul_lo_u32 v26, v2, v7
	v_mul_hi_u32 v27, v2, v7
	v_mul_hi_u32 v28, v6, v10
	v_mul_lo_u32 v10, v6, v10
	v_mul_hi_u32 v29, v6, v7
	v_mul_lo_u32 v7, v6, v7
	v_add_co_u32 v11, vcc_lo, v11, v26
	v_add_co_ci_u32_e32 v26, vcc_lo, 0, v27, vcc_lo
	s_delay_alu instid0(VALU_DEP_2) | instskip(NEXT) | instid1(VALU_DEP_2)
	v_add_co_u32 v10, vcc_lo, v11, v10
	v_add_co_ci_u32_e32 v10, vcc_lo, v26, v28, vcc_lo
	v_add_co_ci_u32_e32 v11, vcc_lo, 0, v29, vcc_lo
	v_ashrrev_i32_e32 v28, 31, v9
	s_delay_alu instid0(VALU_DEP_3) | instskip(NEXT) | instid1(VALU_DEP_3)
	v_add_co_u32 v7, vcc_lo, v10, v7
	v_add_co_ci_u32_e32 v10, vcc_lo, 0, v11, vcc_lo
	s_delay_alu instid0(VALU_DEP_2) | instskip(NEXT) | instid1(VALU_DEP_2)
	v_add_co_u32 v2, vcc_lo, v2, v7
	v_add_co_ci_u32_e32 v6, vcc_lo, v6, v10, vcc_lo
	s_delay_alu instid0(VALU_DEP_2) | instskip(SKIP_1) | instid1(VALU_DEP_3)
	v_mul_hi_u32 v7, s3, v2
	v_mul_lo_u32 v11, s31, v2
	v_mul_lo_u32 v10, s3, v6
	s_delay_alu instid0(VALU_DEP_1) | instskip(SKIP_1) | instid1(VALU_DEP_2)
	v_add_nc_u32_e32 v7, v7, v10
	v_mul_lo_u32 v10, s3, v2
	v_add_nc_u32_e32 v7, v7, v11
	s_delay_alu instid0(VALU_DEP_2) | instskip(NEXT) | instid1(VALU_DEP_2)
	v_mul_hi_u32 v11, v2, v10
	v_mul_lo_u32 v26, v2, v7
	v_mul_hi_u32 v27, v2, v7
	v_mul_hi_u32 v29, v6, v10
	v_mul_lo_u32 v10, v6, v10
	v_mul_hi_u32 v30, v6, v7
	v_mul_lo_u32 v7, v6, v7
	v_add_co_u32 v11, vcc_lo, v11, v26
	v_add_co_ci_u32_e32 v26, vcc_lo, 0, v27, vcc_lo
	s_delay_alu instid0(VALU_DEP_2) | instskip(NEXT) | instid1(VALU_DEP_2)
	v_add_co_u32 v10, vcc_lo, v11, v10
	v_add_co_ci_u32_e32 v10, vcc_lo, v26, v29, vcc_lo
	v_add_co_ci_u32_e32 v11, vcc_lo, 0, v30, vcc_lo
	v_add_co_u32 v8, vcc_lo, v8, v28
	v_add_co_ci_u32_e32 v9, vcc_lo, v9, v28, vcc_lo
	s_delay_alu instid0(VALU_DEP_4) | instskip(NEXT) | instid1(VALU_DEP_4)
	v_add_co_u32 v7, vcc_lo, v10, v7
	v_add_co_ci_u32_e32 v10, vcc_lo, 0, v11, vcc_lo
	s_delay_alu instid0(VALU_DEP_4) | instskip(NEXT) | instid1(VALU_DEP_3)
	v_xor_b32_e32 v26, v8, v28
	v_add_co_u32 v2, vcc_lo, v2, v7
	s_delay_alu instid0(VALU_DEP_3) | instskip(SKIP_1) | instid1(VALU_DEP_3)
	v_add_co_ci_u32_e32 v27, vcc_lo, v6, v10, vcc_lo
	v_xor_b32_e32 v29, v9, v28
	v_mul_hi_u32 v30, v26, v2
	s_delay_alu instid0(VALU_DEP_3) | instskip(NEXT) | instid1(VALU_DEP_3)
	v_mad_u64_u32 v[6:7], null, v26, v27, 0
	v_mad_u64_u32 v[8:9], null, v29, v2, 0
	;; [unrolled: 1-line block ×3, first 2 shown]
	s_delay_alu instid0(VALU_DEP_3) | instskip(NEXT) | instid1(VALU_DEP_4)
	v_add_co_u32 v2, vcc_lo, v30, v6
	v_add_co_ci_u32_e32 v6, vcc_lo, 0, v7, vcc_lo
	s_delay_alu instid0(VALU_DEP_2) | instskip(NEXT) | instid1(VALU_DEP_2)
	v_add_co_u32 v2, vcc_lo, v2, v8
	v_add_co_ci_u32_e32 v2, vcc_lo, v6, v9, vcc_lo
	v_add_co_ci_u32_e32 v6, vcc_lo, 0, v11, vcc_lo
	s_delay_alu instid0(VALU_DEP_2) | instskip(NEXT) | instid1(VALU_DEP_2)
	v_add_co_u32 v2, vcc_lo, v2, v10
	v_add_co_ci_u32_e32 v8, vcc_lo, 0, v6, vcc_lo
	s_delay_alu instid0(VALU_DEP_2) | instskip(SKIP_1) | instid1(VALU_DEP_3)
	v_mul_lo_u32 v9, s13, v2
	v_mad_u64_u32 v[6:7], null, s12, v2, 0
	v_mul_lo_u32 v10, s12, v8
	s_delay_alu instid0(VALU_DEP_2) | instskip(NEXT) | instid1(VALU_DEP_2)
	v_sub_co_u32 v6, vcc_lo, v26, v6
	v_add3_u32 v7, v7, v10, v9
	s_delay_alu instid0(VALU_DEP_1) | instskip(NEXT) | instid1(VALU_DEP_1)
	v_sub_nc_u32_e32 v9, v29, v7
	v_subrev_co_ci_u32_e64 v9, s3, s13, v9, vcc_lo
	v_add_co_u32 v10, s3, v2, 2
	s_delay_alu instid0(VALU_DEP_1) | instskip(SKIP_3) | instid1(VALU_DEP_3)
	v_add_co_ci_u32_e64 v11, s3, 0, v8, s3
	v_sub_co_u32 v26, s3, v6, s12
	v_sub_co_ci_u32_e32 v7, vcc_lo, v29, v7, vcc_lo
	v_subrev_co_ci_u32_e64 v9, s3, 0, v9, s3
	v_cmp_le_u32_e32 vcc_lo, s12, v26
	s_delay_alu instid0(VALU_DEP_3) | instskip(SKIP_1) | instid1(VALU_DEP_4)
	v_cmp_eq_u32_e64 s3, s13, v7
	v_cndmask_b32_e64 v26, 0, -1, vcc_lo
	v_cmp_le_u32_e32 vcc_lo, s13, v9
	v_cndmask_b32_e64 v27, 0, -1, vcc_lo
	v_cmp_le_u32_e32 vcc_lo, s12, v6
	;; [unrolled: 2-line block ×3, first 2 shown]
	v_cndmask_b32_e64 v29, 0, -1, vcc_lo
	v_cmp_eq_u32_e32 vcc_lo, s13, v9
	s_delay_alu instid0(VALU_DEP_2) | instskip(SKIP_3) | instid1(VALU_DEP_3)
	v_cndmask_b32_e64 v6, v29, v6, s3
	v_cndmask_b32_e32 v9, v27, v26, vcc_lo
	v_add_co_u32 v26, vcc_lo, v2, 1
	v_add_co_ci_u32_e32 v27, vcc_lo, 0, v8, vcc_lo
	v_cmp_ne_u32_e32 vcc_lo, 0, v9
	s_delay_alu instid0(VALU_DEP_2) | instskip(NEXT) | instid1(VALU_DEP_4)
	v_cndmask_b32_e32 v7, v27, v11, vcc_lo
	v_cndmask_b32_e32 v9, v26, v10, vcc_lo
	v_cmp_ne_u32_e32 vcc_lo, 0, v6
	v_xor_b32_e32 v6, s4, v28
	s_delay_alu instid0(VALU_DEP_3) | instskip(SKIP_1) | instid1(VALU_DEP_2)
	v_dual_cndmask_b32 v2, v2, v9 :: v_dual_cndmask_b32 v7, v8, v7
	v_xor_b32_e32 v8, s5, v28
	v_xor_b32_e32 v2, v2, v6
	s_delay_alu instid0(VALU_DEP_2) | instskip(NEXT) | instid1(VALU_DEP_2)
	v_xor_b32_e32 v7, v7, v8
	v_sub_co_u32 v6, vcc_lo, v2, v6
	s_delay_alu instid0(VALU_DEP_2)
	v_sub_co_ci_u32_e32 v7, vcc_lo, v7, v8, vcc_lo
                                        ; implicit-def: $vgpr8_vgpr9
.LBB6_29:                               ;   in Loop: Header=BB6_27 Depth=2
	s_or_saveexec_b32 s3, s30
	v_cvt_f32_u32_e32 v26, s18
	s_xor_b32 exec_lo, exec_lo, s3
	s_cbranch_execz .LBB6_31
; %bb.30:                               ;   in Loop: Header=BB6_27 Depth=2
	s_delay_alu instid0(VALU_DEP_1) | instskip(SKIP_3) | instid1(VALU_DEP_1)
	v_rcp_iflag_f32_e32 v2, v26
	s_sub_i32 s4, 0, s18
	s_waitcnt_depctr 0xfff
	v_mul_f32_e32 v2, 0x4f7ffffe, v2
	v_cvt_u32_f32_e32 v2, v2
	s_delay_alu instid0(VALU_DEP_1) | instskip(NEXT) | instid1(VALU_DEP_1)
	v_mul_lo_u32 v6, s4, v2
	v_mul_hi_u32 v6, v2, v6
	s_delay_alu instid0(VALU_DEP_1) | instskip(NEXT) | instid1(VALU_DEP_1)
	v_add_nc_u32_e32 v2, v2, v6
	v_mul_hi_u32 v2, v8, v2
	s_delay_alu instid0(VALU_DEP_1) | instskip(NEXT) | instid1(VALU_DEP_1)
	v_mul_lo_u32 v6, v2, s18
	v_sub_nc_u32_e32 v6, v8, v6
	s_delay_alu instid0(VALU_DEP_1) | instskip(SKIP_1) | instid1(VALU_DEP_2)
	v_subrev_nc_u32_e32 v8, s18, v6
	v_cmp_le_u32_e32 vcc_lo, s18, v6
	v_dual_cndmask_b32 v6, v6, v8 :: v_dual_add_nc_u32 v7, 1, v2
	s_delay_alu instid0(VALU_DEP_1) | instskip(NEXT) | instid1(VALU_DEP_2)
	v_cndmask_b32_e32 v2, v2, v7, vcc_lo
	v_cmp_le_u32_e32 vcc_lo, s18, v6
	s_delay_alu instid0(VALU_DEP_2) | instskip(NEXT) | instid1(VALU_DEP_1)
	v_add_nc_u32_e32 v7, 1, v2
	v_cndmask_b32_e32 v2, v2, v7, vcc_lo
	s_delay_alu instid0(VALU_DEP_1)
	v_dual_mov_b32 v7, v3 :: v_dual_mov_b32 v6, v2
.LBB6_31:                               ;   in Loop: Header=BB6_27 Depth=2
	s_or_b32 exec_lo, exec_lo, s3
	v_add_co_u32 v2, s3, v4, 1
	s_delay_alu instid0(VALU_DEP_1) | instskip(NEXT) | instid1(VALU_DEP_2)
	v_add_co_ci_u32_e64 v8, null, 0, 0, s3
	v_mul_lo_u32 v10, v2, s26
	s_delay_alu instid0(VALU_DEP_2) | instskip(SKIP_1) | instid1(VALU_DEP_1)
	v_mul_lo_u32 v11, v8, s6
	v_mad_u64_u32 v[8:9], null, v2, s6, -1
	v_add3_u32 v9, v11, v9, v10
	v_mov_b32_e32 v10, v3
	s_delay_alu instid0(VALU_DEP_2) | instskip(NEXT) | instid1(VALU_DEP_1)
	v_or_b32_e32 v11, s17, v9
	v_cmp_ne_u64_e32 vcc_lo, 0, v[10:11]
                                        ; implicit-def: $vgpr10_vgpr11
	s_and_saveexec_b32 s3, vcc_lo
	s_delay_alu instid0(SALU_CYCLE_1)
	s_xor_b32 s30, exec_lo, s3
	s_cbranch_execnz .LBB6_34
; %bb.32:                               ;   in Loop: Header=BB6_27 Depth=2
	s_and_not1_saveexec_b32 s3, s30
	s_cbranch_execnz .LBB6_35
.LBB6_33:                               ;   in Loop: Header=BB6_27 Depth=2
	s_or_b32 exec_lo, exec_lo, s3
	s_delay_alu instid0(SALU_CYCLE_1)
	s_and_not1_b32 vcc_lo, exec_lo, s1
	s_cbranch_vccnz .LBB6_26
	s_branch .LBB6_36
.LBB6_34:                               ;   in Loop: Header=BB6_27 Depth=2
	s_add_u32 s12, s18, s17
	s_mov_b32 s4, s17
	s_mov_b32 s5, s17
	s_addc_u32 s13, s17, s17
	s_delay_alu instid0(SALU_CYCLE_1) | instskip(NEXT) | instid1(SALU_CYCLE_1)
	s_xor_b64 s[12:13], s[12:13], s[4:5]
	v_cvt_f32_u32_e32 v2, s12
	v_cvt_f32_u32_e32 v10, s13
	s_sub_u32 s3, 0, s12
	s_subb_u32 s5, 0, s13
	s_delay_alu instid0(VALU_DEP_1) | instskip(NEXT) | instid1(VALU_DEP_1)
	v_fmac_f32_e32 v2, 0x4f800000, v10
	v_rcp_f32_e32 v2, v2
	s_waitcnt_depctr 0xfff
	v_mul_f32_e32 v2, 0x5f7ffffc, v2
	s_delay_alu instid0(VALU_DEP_1) | instskip(NEXT) | instid1(VALU_DEP_1)
	v_mul_f32_e32 v10, 0x2f800000, v2
	v_trunc_f32_e32 v10, v10
	s_delay_alu instid0(VALU_DEP_1) | instskip(SKIP_1) | instid1(VALU_DEP_2)
	v_fmac_f32_e32 v2, 0xcf800000, v10
	v_cvt_u32_f32_e32 v10, v10
	v_cvt_u32_f32_e32 v2, v2
	s_delay_alu instid0(VALU_DEP_2) | instskip(NEXT) | instid1(VALU_DEP_2)
	v_mul_lo_u32 v11, s3, v10
	v_mul_hi_u32 v26, s3, v2
	v_mul_lo_u32 v27, s5, v2
	s_delay_alu instid0(VALU_DEP_2) | instskip(SKIP_1) | instid1(VALU_DEP_2)
	v_add_nc_u32_e32 v11, v26, v11
	v_mul_lo_u32 v26, s3, v2
	v_add_nc_u32_e32 v11, v11, v27
	s_delay_alu instid0(VALU_DEP_2) | instskip(NEXT) | instid1(VALU_DEP_2)
	v_mul_hi_u32 v27, v2, v26
	v_mul_lo_u32 v28, v2, v11
	v_mul_hi_u32 v29, v2, v11
	v_mul_hi_u32 v30, v10, v26
	v_mul_lo_u32 v26, v10, v26
	v_mul_hi_u32 v31, v10, v11
	v_mul_lo_u32 v11, v10, v11
	v_add_co_u32 v27, vcc_lo, v27, v28
	v_add_co_ci_u32_e32 v28, vcc_lo, 0, v29, vcc_lo
	s_delay_alu instid0(VALU_DEP_2) | instskip(NEXT) | instid1(VALU_DEP_2)
	v_add_co_u32 v26, vcc_lo, v27, v26
	v_add_co_ci_u32_e32 v26, vcc_lo, v28, v30, vcc_lo
	v_add_co_ci_u32_e32 v27, vcc_lo, 0, v31, vcc_lo
	v_ashrrev_i32_e32 v30, 31, v9
	s_delay_alu instid0(VALU_DEP_3) | instskip(NEXT) | instid1(VALU_DEP_3)
	v_add_co_u32 v11, vcc_lo, v26, v11
	v_add_co_ci_u32_e32 v26, vcc_lo, 0, v27, vcc_lo
	s_delay_alu instid0(VALU_DEP_2) | instskip(NEXT) | instid1(VALU_DEP_2)
	v_add_co_u32 v2, vcc_lo, v2, v11
	v_add_co_ci_u32_e32 v10, vcc_lo, v10, v26, vcc_lo
	s_delay_alu instid0(VALU_DEP_2) | instskip(SKIP_1) | instid1(VALU_DEP_3)
	v_mul_hi_u32 v11, s3, v2
	v_mul_lo_u32 v27, s5, v2
	v_mul_lo_u32 v26, s3, v10
	s_delay_alu instid0(VALU_DEP_1) | instskip(SKIP_1) | instid1(VALU_DEP_2)
	v_add_nc_u32_e32 v11, v11, v26
	v_mul_lo_u32 v26, s3, v2
	v_add_nc_u32_e32 v11, v11, v27
	s_delay_alu instid0(VALU_DEP_2) | instskip(NEXT) | instid1(VALU_DEP_2)
	v_mul_hi_u32 v27, v2, v26
	v_mul_lo_u32 v28, v2, v11
	v_mul_hi_u32 v29, v2, v11
	v_mul_hi_u32 v31, v10, v26
	v_mul_lo_u32 v26, v10, v26
	v_mul_hi_u32 v32, v10, v11
	v_mul_lo_u32 v11, v10, v11
	v_add_co_u32 v27, vcc_lo, v27, v28
	v_add_co_ci_u32_e32 v28, vcc_lo, 0, v29, vcc_lo
	s_delay_alu instid0(VALU_DEP_2) | instskip(NEXT) | instid1(VALU_DEP_2)
	v_add_co_u32 v26, vcc_lo, v27, v26
	v_add_co_ci_u32_e32 v26, vcc_lo, v28, v31, vcc_lo
	v_add_co_ci_u32_e32 v27, vcc_lo, 0, v32, vcc_lo
	v_add_co_u32 v8, vcc_lo, v8, v30
	v_add_co_ci_u32_e32 v9, vcc_lo, v9, v30, vcc_lo
	s_delay_alu instid0(VALU_DEP_4) | instskip(NEXT) | instid1(VALU_DEP_4)
	v_add_co_u32 v11, vcc_lo, v26, v11
	v_add_co_ci_u32_e32 v26, vcc_lo, 0, v27, vcc_lo
	s_delay_alu instid0(VALU_DEP_4) | instskip(NEXT) | instid1(VALU_DEP_3)
	v_xor_b32_e32 v28, v8, v30
	v_add_co_u32 v2, vcc_lo, v2, v11
	s_delay_alu instid0(VALU_DEP_3) | instskip(SKIP_1) | instid1(VALU_DEP_3)
	v_add_co_ci_u32_e32 v29, vcc_lo, v10, v26, vcc_lo
	v_xor_b32_e32 v31, v9, v30
	v_mul_hi_u32 v32, v28, v2
	s_delay_alu instid0(VALU_DEP_3) | instskip(NEXT) | instid1(VALU_DEP_3)
	v_mad_u64_u32 v[8:9], null, v28, v29, 0
	v_mad_u64_u32 v[10:11], null, v31, v2, 0
	;; [unrolled: 1-line block ×3, first 2 shown]
	s_delay_alu instid0(VALU_DEP_3) | instskip(NEXT) | instid1(VALU_DEP_4)
	v_add_co_u32 v2, vcc_lo, v32, v8
	v_add_co_ci_u32_e32 v8, vcc_lo, 0, v9, vcc_lo
	s_delay_alu instid0(VALU_DEP_2) | instskip(NEXT) | instid1(VALU_DEP_2)
	v_add_co_u32 v2, vcc_lo, v2, v10
	v_add_co_ci_u32_e32 v2, vcc_lo, v8, v11, vcc_lo
	v_add_co_ci_u32_e32 v8, vcc_lo, 0, v27, vcc_lo
	s_delay_alu instid0(VALU_DEP_2) | instskip(NEXT) | instid1(VALU_DEP_2)
	v_add_co_u32 v2, vcc_lo, v2, v26
	v_add_co_ci_u32_e32 v10, vcc_lo, 0, v8, vcc_lo
	s_delay_alu instid0(VALU_DEP_2) | instskip(SKIP_1) | instid1(VALU_DEP_3)
	v_mul_lo_u32 v11, s13, v2
	v_mad_u64_u32 v[8:9], null, s12, v2, 0
	v_mul_lo_u32 v10, s12, v10
	s_delay_alu instid0(VALU_DEP_2) | instskip(NEXT) | instid1(VALU_DEP_2)
	v_sub_co_u32 v8, vcc_lo, v28, v8
	v_add3_u32 v9, v9, v10, v11
	v_add_co_u32 v11, s3, v2, 2
	s_delay_alu instid0(VALU_DEP_2) | instskip(NEXT) | instid1(VALU_DEP_1)
	v_sub_nc_u32_e32 v10, v31, v9
	v_subrev_co_ci_u32_e64 v10, s3, s13, v10, vcc_lo
	v_sub_co_u32 v26, s3, v8, s12
	v_sub_co_ci_u32_e32 v9, vcc_lo, v31, v9, vcc_lo
	s_delay_alu instid0(VALU_DEP_3) | instskip(NEXT) | instid1(VALU_DEP_3)
	v_subrev_co_ci_u32_e64 v10, s3, 0, v10, s3
	v_cmp_le_u32_e32 vcc_lo, s12, v26
	v_cndmask_b32_e64 v26, 0, -1, vcc_lo
	s_delay_alu instid0(VALU_DEP_3)
	v_cmp_le_u32_e32 vcc_lo, s13, v10
	v_cndmask_b32_e64 v27, 0, -1, vcc_lo
	v_cmp_le_u32_e32 vcc_lo, s12, v8
	v_cndmask_b32_e64 v8, 0, -1, vcc_lo
	;; [unrolled: 2-line block ×3, first 2 shown]
	v_cmp_eq_u32_e32 vcc_lo, s13, v10
	v_cndmask_b32_e32 v10, v27, v26, vcc_lo
	v_add_co_u32 v26, vcc_lo, v2, 1
	v_cmp_eq_u32_e32 vcc_lo, s13, v9
	v_cndmask_b32_e32 v8, v28, v8, vcc_lo
	s_delay_alu instid0(VALU_DEP_4) | instskip(NEXT) | instid1(VALU_DEP_4)
	v_cmp_ne_u32_e32 vcc_lo, 0, v10
	v_cndmask_b32_e32 v9, v26, v11, vcc_lo
	s_delay_alu instid0(VALU_DEP_3) | instskip(SKIP_1) | instid1(VALU_DEP_3)
	v_cmp_ne_u32_e32 vcc_lo, 0, v8
	v_xor_b32_e32 v8, s4, v30
                                        ; implicit-def: $vgpr26
	v_cndmask_b32_e32 v2, v2, v9, vcc_lo
	s_delay_alu instid0(VALU_DEP_1) | instskip(NEXT) | instid1(VALU_DEP_1)
	v_xor_b32_e32 v2, v2, v8
	v_sub_co_u32 v10, vcc_lo, v2, v8
                                        ; implicit-def: $vgpr8_vgpr9
	s_and_not1_saveexec_b32 s3, s30
	s_cbranch_execz .LBB6_33
.LBB6_35:                               ;   in Loop: Header=BB6_27 Depth=2
	v_rcp_iflag_f32_e32 v2, v26
	s_sub_i32 s4, 0, s18
	s_waitcnt_depctr 0xfff
	v_mul_f32_e32 v2, 0x4f7ffffe, v2
	s_delay_alu instid0(VALU_DEP_1) | instskip(NEXT) | instid1(VALU_DEP_1)
	v_cvt_u32_f32_e32 v2, v2
	v_mul_lo_u32 v9, s4, v2
	s_delay_alu instid0(VALU_DEP_1) | instskip(NEXT) | instid1(VALU_DEP_1)
	v_mul_hi_u32 v9, v2, v9
	v_add_nc_u32_e32 v2, v2, v9
	s_delay_alu instid0(VALU_DEP_1) | instskip(NEXT) | instid1(VALU_DEP_1)
	v_mul_hi_u32 v2, v8, v2
	v_mul_lo_u32 v9, v2, s18
	s_delay_alu instid0(VALU_DEP_1) | instskip(SKIP_1) | instid1(VALU_DEP_2)
	v_sub_nc_u32_e32 v8, v8, v9
	v_add_nc_u32_e32 v9, 1, v2
	v_subrev_nc_u32_e32 v10, s18, v8
	v_cmp_le_u32_e32 vcc_lo, s18, v8
	s_delay_alu instid0(VALU_DEP_2) | instskip(NEXT) | instid1(VALU_DEP_4)
	v_cndmask_b32_e32 v8, v8, v10, vcc_lo
	v_cndmask_b32_e32 v2, v2, v9, vcc_lo
	s_delay_alu instid0(VALU_DEP_2) | instskip(NEXT) | instid1(VALU_DEP_2)
	v_cmp_le_u32_e32 vcc_lo, s18, v8
	v_add_nc_u32_e32 v9, 1, v2
	s_delay_alu instid0(VALU_DEP_1) | instskip(SKIP_1) | instid1(SALU_CYCLE_1)
	v_cndmask_b32_e32 v10, v2, v9, vcc_lo
	s_or_b32 exec_lo, exec_lo, s3
	s_and_not1_b32 vcc_lo, exec_lo, s1
	s_cbranch_vccnz .LBB6_26
.LBB6_36:                               ;   in Loop: Header=BB6_27 Depth=2
	v_lshlrev_b64 v[8:9], 1, v[4:5]
	v_cvt_f32_f16_e32 v5, v13
	s_mov_b32 s12, 0
	s_delay_alu instid0(VALU_DEP_1) | instskip(NEXT) | instid1(VALU_DEP_2)
	v_rcp_f32_e32 v5, v5
	v_add_co_u32 v8, vcc_lo, v20, v8
	s_delay_alu instid0(VALU_DEP_3) | instskip(SKIP_3) | instid1(VALU_DEP_1)
	v_add_co_ci_u32_e32 v9, vcc_lo, v21, v9, vcc_lo
	global_load_u16 v2, v[8:9], off
	s_waitcnt vmcnt(0)
	v_cvt_f32_f16_e32 v8, v2
	v_mul_f32_e32 v8, v8, v5
	s_delay_alu instid0(VALU_DEP_1) | instskip(NEXT) | instid1(VALU_DEP_1)
	v_fma_mix_f32 v9, -v13, v8, v2 op_sel_hi:[1,0,1]
	v_fmac_f32_e32 v8, v9, v5
	s_delay_alu instid0(VALU_DEP_1) | instskip(NEXT) | instid1(VALU_DEP_1)
	v_fma_mix_f32 v9, -v13, v8, v2 op_sel_hi:[1,0,1]
	v_mul_f32_e32 v5, v9, v5
	s_delay_alu instid0(VALU_DEP_1) | instskip(NEXT) | instid1(VALU_DEP_1)
	v_and_b32_e32 v5, 0xff800000, v5
	v_add_f32_e32 v5, v5, v8
	v_cvt_f32_f16_e32 v8, v22
	s_delay_alu instid0(VALU_DEP_2) | instskip(NEXT) | instid1(VALU_DEP_2)
	v_cvt_f16_f32_e32 v5, v5
	v_rcp_f32_e32 v11, v8
	v_mad_i64_i32 v[8:9], null, v25, s6, v[6:7]
	s_delay_alu instid0(VALU_DEP_2) | instskip(NEXT) | instid1(VALU_DEP_2)
	v_div_fixup_f16 v2, v5, v13, v2
	v_sub_nc_u32_e32 v6, v10, v8
	s_delay_alu instid0(VALU_DEP_2) | instskip(NEXT) | instid1(VALU_DEP_2)
	v_cvt_f32_f16_e32 v5, v2
	v_add_nc_u32_e32 v9, 1, v6
	s_waitcnt_depctr 0xfff
	v_mul_f32_e32 v5, v5, v11
	v_cmp_lt_i32_e64 s3, 0, v9
	s_delay_alu instid0(VALU_DEP_2) | instskip(NEXT) | instid1(VALU_DEP_1)
	v_fma_mix_f32 v26, -v22, v5, v2 op_sel_hi:[1,0,1]
	v_fmac_f32_e32 v5, v26, v11
	s_delay_alu instid0(VALU_DEP_1) | instskip(NEXT) | instid1(VALU_DEP_1)
	v_fma_mix_f32 v7, -v22, v5, v2 op_sel_hi:[1,0,1]
	v_mul_f32_e32 v6, v7, v11
	v_cvt_f32_i32_e32 v7, v9
	s_delay_alu instid0(VALU_DEP_2) | instskip(NEXT) | instid1(VALU_DEP_2)
	v_and_b32_e32 v6, 0xff800000, v6
	v_cvt_f16_f32_e32 v7, v7
	s_delay_alu instid0(VALU_DEP_2) | instskip(NEXT) | instid1(VALU_DEP_2)
	v_add_f32_e32 v5, v6, v5
	v_cvt_f32_f16_e32 v6, v7
	s_delay_alu instid0(VALU_DEP_2) | instskip(NEXT) | instid1(VALU_DEP_2)
	v_cvt_f16_f32_e32 v5, v5
	v_rcp_f32_e32 v6, v6
	s_delay_alu instid0(VALU_DEP_1) | instskip(NEXT) | instid1(VALU_DEP_1)
	v_div_fixup_f16 v2, v5, v22, v2
	v_cvt_f32_f16_e32 v5, v2
	s_waitcnt_depctr 0xfff
	v_mul_f32_e32 v10, v5, v6
	s_delay_alu instid0(VALU_DEP_1) | instskip(NEXT) | instid1(VALU_DEP_1)
	v_fma_mix_f32 v5, -v7, v10, v2 op_sel_hi:[1,0,1]
	v_fmac_f32_e32 v10, v5, v6
	s_delay_alu instid0(VALU_DEP_1) | instskip(NEXT) | instid1(VALU_DEP_1)
	v_fma_mix_f32 v5, -v7, v10, v2 op_sel_hi:[1,0,1]
	v_dual_mul_f32 v6, v5, v6 :: v_dual_mov_b32 v5, v3
	s_delay_alu instid0(VALU_DEP_1) | instskip(NEXT) | instid1(VALU_DEP_1)
	v_dual_mov_b32 v6, v8 :: v_dual_and_b32 v11, 0xff800000, v6
	v_add_f32_e32 v8, v11, v10
	s_delay_alu instid0(VALU_DEP_2) | instskip(NEXT) | instid1(VALU_DEP_2)
	v_ashrrev_i64 v[5:6], 31, v[5:6]
	v_cvt_f16_f32_e32 v8, v8
	s_delay_alu instid0(VALU_DEP_2) | instskip(NEXT) | instid1(VALU_DEP_3)
	v_add_co_u32 v10, vcc_lo, v23, v5
	v_add_co_ci_u32_e32 v11, vcc_lo, v24, v6, vcc_lo
	s_delay_alu instid0(VALU_DEP_3)
	v_div_fixup_f16 v25, v8, v7, v2
	s_branch .LBB6_38
.LBB6_37:                               ;   in Loop: Header=BB6_38 Depth=3
	s_or_b32 exec_lo, exec_lo, s13
	s_add_i32 s12, s12, 1
	v_add_co_u32 v10, s4, v10, s10
	v_cmp_ne_u32_e32 vcc_lo, s12, v12
	v_add_co_ci_u32_e64 v11, s4, s11, v11, s4
	s_cbranch_vccz .LBB6_26
.LBB6_38:                               ;   Parent Loop BB6_12 Depth=1
                                        ;     Parent Loop BB6_27 Depth=2
                                        ; =>    This Loop Header: Depth=3
                                        ;         Child Loop BB6_41 Depth 4
                                        ;           Child Loop BB6_44 Depth 5
                                        ;             Child Loop BB6_46 Depth 6
	s_and_saveexec_b32 s13, s2
	s_cbranch_execz .LBB6_37
; %bb.39:                               ;   in Loop: Header=BB6_38 Depth=3
	s_mov_b32 s30, 0
	s_mov_b32 s31, 0
	s_branch .LBB6_41
.LBB6_40:                               ;   in Loop: Header=BB6_41 Depth=4
	s_set_inst_prefetch_distance 0x2
	s_or_b32 exec_lo, exec_lo, s33
	s_add_i32 s31, s31, 1
	s_delay_alu instid0(SALU_CYCLE_1) | instskip(SKIP_1) | instid1(SALU_CYCLE_1)
	v_cmp_ge_i32_e32 vcc_lo, s31, v19
	s_or_b32 s30, vcc_lo, s30
	s_and_not1_b32 exec_lo, exec_lo, s30
	s_cbranch_execz .LBB6_37
.LBB6_41:                               ;   Parent Loop BB6_12 Depth=1
                                        ;     Parent Loop BB6_27 Depth=2
                                        ;       Parent Loop BB6_38 Depth=3
                                        ; =>      This Loop Header: Depth=4
                                        ;           Child Loop BB6_44 Depth 5
                                        ;             Child Loop BB6_46 Depth 6
	s_and_saveexec_b32 s33, s3
	s_cbranch_execz .LBB6_40
; %bb.42:                               ;   in Loop: Header=BB6_41 Depth=4
	s_mul_i32 s34, s31, s6
	s_mov_b32 s35, 0
	s_mov_b32 s36, 0
	s_set_inst_prefetch_distance 0x1
	s_branch .LBB6_44
	.p2align	6
.LBB6_43:                               ;   in Loop: Header=BB6_44 Depth=5
	s_or_b32 exec_lo, exec_lo, s37
	s_add_i32 s36, s36, 1
	s_delay_alu instid0(SALU_CYCLE_1) | instskip(SKIP_1) | instid1(SALU_CYCLE_1)
	v_cmp_ge_i32_e32 vcc_lo, s36, v9
	s_or_b32 s35, vcc_lo, s35
	s_and_not1_b32 exec_lo, exec_lo, s35
	s_cbranch_execz .LBB6_40
.LBB6_44:                               ;   Parent Loop BB6_12 Depth=1
                                        ;     Parent Loop BB6_27 Depth=2
                                        ;       Parent Loop BB6_38 Depth=3
                                        ;         Parent Loop BB6_41 Depth=4
                                        ; =>        This Loop Header: Depth=5
                                        ;             Child Loop BB6_46 Depth 6
	s_add_i32 s4, s36, s34
	s_mov_b32 s37, 0
	s_ashr_i32 s5, s4, 31
	s_delay_alu instid0(SALU_CYCLE_1) | instskip(NEXT) | instid1(SALU_CYCLE_1)
	s_lshl_b64 s[4:5], s[4:5], 1
	v_add_co_u32 v2, vcc_lo, v10, s4
	v_add_co_ci_u32_e32 v6, vcc_lo, s5, v11, vcc_lo
	s_delay_alu instid0(VALU_DEP_2)
	v_and_b32_e32 v5, -3, v2
	v_and_b32_e32 v2, 2, v2
	global_load_b32 v8, v[5:6], off
	v_cmp_eq_u64_e32 vcc_lo, 0, v[2:3]
	v_cmp_ne_u32_e64 s4, 0, v2
	s_branch .LBB6_46
	.p2align	6
.LBB6_45:                               ;   in Loop: Header=BB6_46 Depth=6
	s_or_b32 exec_lo, exec_lo, s5
	global_atomic_cmpswap_b32 v2, v[5:6], v[7:8], off glc
	s_waitcnt vmcnt(0)
	v_cmp_eq_u32_e64 s5, v8, v2
	v_mov_b32_e32 v8, v2
	s_delay_alu instid0(VALU_DEP_2) | instskip(NEXT) | instid1(SALU_CYCLE_1)
	s_or_b32 s37, s5, s37
	s_and_not1_b32 exec_lo, exec_lo, s37
	s_cbranch_execz .LBB6_43
.LBB6_46:                               ;   Parent Loop BB6_12 Depth=1
                                        ;     Parent Loop BB6_27 Depth=2
                                        ;       Parent Loop BB6_38 Depth=3
                                        ;         Parent Loop BB6_41 Depth=4
                                        ;           Parent Loop BB6_44 Depth=5
                                        ; =>          This Inner Loop Header: Depth=6
	s_waitcnt vmcnt(0)
	v_lshrrev_b32_e32 v2, 16, v8
	s_delay_alu instid0(VALU_DEP_1) | instskip(NEXT) | instid1(VALU_DEP_1)
	v_cndmask_b32_e32 v2, v2, v8, vcc_lo
	v_add_f16_e32 v2, v25, v2
	s_delay_alu instid0(VALU_DEP_1) | instskip(SKIP_1) | instid1(SALU_CYCLE_1)
	v_and_b32_e32 v2, 0xffff, v2
	s_and_saveexec_b32 s5, s4
	s_xor_b32 s5, exec_lo, s5
; %bb.47:                               ;   in Loop: Header=BB6_46 Depth=6
	v_and_b32_e32 v7, 0xffff, v8
	s_delay_alu instid0(VALU_DEP_1)
	v_lshl_or_b32 v7, v2, 16, v7
                                        ; implicit-def: $vgpr2
; %bb.48:                               ;   in Loop: Header=BB6_46 Depth=6
	s_and_not1_saveexec_b32 s5, s5
	s_cbranch_execz .LBB6_45
; %bb.49:                               ;   in Loop: Header=BB6_46 Depth=6
	v_and_or_b32 v7, 0xffff0000, v8, v2
	s_branch .LBB6_45
.LBB6_50:
	s_endpgm
.LBB6_51:
                                        ; implicit-def: $sgpr16_sgpr17
	s_branch .LBB6_2
.LBB6_52:
                                        ; implicit-def: $vgpr3_vgpr4
	s_load_b32 s24, s[0:1], 0x3c
	s_branch .LBB6_5
.LBB6_53:
                                        ; implicit-def: $vgpr4_vgpr5
	s_load_b32 s19, s[0:1], 0x34
	s_branch .LBB6_9
	.section	.rodata,"a",@progbits
	.p2align	6, 0x0
	.amdhsa_kernel _ZN2at6native12_GLOBAL__N_130atomicadaptiveaveragegradinputIN3c104HalfEEEvPT_PKS5_iiiiiil
		.amdhsa_group_segment_fixed_size 0
		.amdhsa_private_segment_fixed_size 0
		.amdhsa_kernarg_size 304
		.amdhsa_user_sgpr_count 14
		.amdhsa_user_sgpr_dispatch_ptr 0
		.amdhsa_user_sgpr_queue_ptr 0
		.amdhsa_user_sgpr_kernarg_segment_ptr 1
		.amdhsa_user_sgpr_dispatch_id 0
		.amdhsa_user_sgpr_private_segment_size 0
		.amdhsa_wavefront_size32 1
		.amdhsa_uses_dynamic_stack 0
		.amdhsa_enable_private_segment 0
		.amdhsa_system_sgpr_workgroup_id_x 1
		.amdhsa_system_sgpr_workgroup_id_y 1
		.amdhsa_system_sgpr_workgroup_id_z 0
		.amdhsa_system_sgpr_workgroup_info 0
		.amdhsa_system_vgpr_workitem_id 1
		.amdhsa_next_free_vgpr 33
		.amdhsa_next_free_sgpr 38
		.amdhsa_reserve_vcc 1
		.amdhsa_float_round_mode_32 0
		.amdhsa_float_round_mode_16_64 0
		.amdhsa_float_denorm_mode_32 3
		.amdhsa_float_denorm_mode_16_64 3
		.amdhsa_dx10_clamp 1
		.amdhsa_ieee_mode 1
		.amdhsa_fp16_overflow 0
		.amdhsa_workgroup_processor_mode 1
		.amdhsa_memory_ordered 1
		.amdhsa_forward_progress 0
		.amdhsa_shared_vgpr_count 0
		.amdhsa_exception_fp_ieee_invalid_op 0
		.amdhsa_exception_fp_denorm_src 0
		.amdhsa_exception_fp_ieee_div_zero 0
		.amdhsa_exception_fp_ieee_overflow 0
		.amdhsa_exception_fp_ieee_underflow 0
		.amdhsa_exception_fp_ieee_inexact 0
		.amdhsa_exception_int_div_zero 0
	.end_amdhsa_kernel
	.section	.text._ZN2at6native12_GLOBAL__N_130atomicadaptiveaveragegradinputIN3c104HalfEEEvPT_PKS5_iiiiiil,"axG",@progbits,_ZN2at6native12_GLOBAL__N_130atomicadaptiveaveragegradinputIN3c104HalfEEEvPT_PKS5_iiiiiil,comdat
.Lfunc_end6:
	.size	_ZN2at6native12_GLOBAL__N_130atomicadaptiveaveragegradinputIN3c104HalfEEEvPT_PKS5_iiiiiil, .Lfunc_end6-_ZN2at6native12_GLOBAL__N_130atomicadaptiveaveragegradinputIN3c104HalfEEEvPT_PKS5_iiiiiil
                                        ; -- End function
	.section	.AMDGPU.csdata,"",@progbits
; Kernel info:
; codeLenInByte = 8140
; NumSgprs: 40
; NumVgprs: 33
; ScratchSize: 0
; MemoryBound: 0
; FloatMode: 240
; IeeeMode: 1
; LDSByteSize: 0 bytes/workgroup (compile time only)
; SGPRBlocks: 4
; VGPRBlocks: 4
; NumSGPRsForWavesPerEU: 40
; NumVGPRsForWavesPerEU: 33
; Occupancy: 16
; WaveLimiterHint : 0
; COMPUTE_PGM_RSRC2:SCRATCH_EN: 0
; COMPUTE_PGM_RSRC2:USER_SGPR: 14
; COMPUTE_PGM_RSRC2:TRAP_HANDLER: 0
; COMPUTE_PGM_RSRC2:TGID_X_EN: 1
; COMPUTE_PGM_RSRC2:TGID_Y_EN: 1
; COMPUTE_PGM_RSRC2:TGID_Z_EN: 0
; COMPUTE_PGM_RSRC2:TIDIG_COMP_CNT: 1
	.section	.text._ZN2at6native12_GLOBAL__N_130atomicadaptiveaveragegradinputIN3c108BFloat16EEEvPT_PKS5_iiiiiil,"axG",@progbits,_ZN2at6native12_GLOBAL__N_130atomicadaptiveaveragegradinputIN3c108BFloat16EEEvPT_PKS5_iiiiiil,comdat
	.globl	_ZN2at6native12_GLOBAL__N_130atomicadaptiveaveragegradinputIN3c108BFloat16EEEvPT_PKS5_iiiiiil ; -- Begin function _ZN2at6native12_GLOBAL__N_130atomicadaptiveaveragegradinputIN3c108BFloat16EEEvPT_PKS5_iiiiiil
	.p2align	8
	.type	_ZN2at6native12_GLOBAL__N_130atomicadaptiveaveragegradinputIN3c108BFloat16EEEvPT_PKS5_iiiiiil,@function
_ZN2at6native12_GLOBAL__N_130atomicadaptiveaveragegradinputIN3c108BFloat16EEEvPT_PKS5_iiiiiil: ; @_ZN2at6native12_GLOBAL__N_130atomicadaptiveaveragegradinputIN3c108BFloat16EEEvPT_PKS5_iiiiiil
; %bb.0:
	s_load_b256 s[4:11], s[0:1], 0x10
	s_waitcnt lgkmcnt(0)
	s_add_u32 s10, s14, s10
	s_addc_u32 s11, 0, s11
	s_ashr_i32 s13, s7, 31
	s_mov_b32 s12, s7
	s_delay_alu instid0(SALU_CYCLE_1) | instskip(SKIP_1) | instid1(SALU_CYCLE_1)
	s_or_b64 s[2:3], s[10:11], s[12:13]
	s_mov_b32 s2, 0
	s_cmp_lg_u64 s[2:3], 0
	s_cbranch_scc0 .LBB7_55
; %bb.1:
	s_add_u32 s18, s12, s13
	s_mov_b32 s16, s13
	s_mov_b32 s17, s13
	s_addc_u32 s19, s13, s13
	s_delay_alu instid0(SALU_CYCLE_1) | instskip(NEXT) | instid1(SALU_CYCLE_1)
	s_xor_b64 s[18:19], s[18:19], s[16:17]
	v_cvt_f32_u32_e32 v1, s18
	v_cvt_f32_u32_e32 v2, s19
	s_sub_u32 s14, 0, s18
	s_subb_u32 s20, 0, s19
	s_delay_alu instid0(VALU_DEP_1) | instskip(NEXT) | instid1(VALU_DEP_1)
	v_fmamk_f32 v1, v2, 0x4f800000, v1
	v_rcp_f32_e32 v1, v1
	s_waitcnt_depctr 0xfff
	v_mul_f32_e32 v1, 0x5f7ffffc, v1
	s_delay_alu instid0(VALU_DEP_1) | instskip(NEXT) | instid1(VALU_DEP_1)
	v_mul_f32_e32 v2, 0x2f800000, v1
	v_trunc_f32_e32 v2, v2
	s_delay_alu instid0(VALU_DEP_1) | instskip(SKIP_1) | instid1(VALU_DEP_2)
	v_fmamk_f32 v1, v2, 0xcf800000, v1
	v_cvt_u32_f32_e32 v2, v2
	v_cvt_u32_f32_e32 v1, v1
	s_delay_alu instid0(VALU_DEP_2) | instskip(NEXT) | instid1(VALU_DEP_2)
	v_readfirstlane_b32 s3, v2
	v_readfirstlane_b32 s7, v1
	s_delay_alu instid0(VALU_DEP_2) | instskip(NEXT) | instid1(VALU_DEP_1)
	s_mul_i32 s21, s14, s3
	s_mul_hi_u32 s23, s14, s7
	s_mul_i32 s22, s20, s7
	s_add_i32 s21, s23, s21
	s_mul_i32 s24, s14, s7
	s_add_i32 s21, s21, s22
	s_mul_hi_u32 s23, s7, s24
	s_mul_hi_u32 s25, s3, s24
	s_mul_i32 s22, s3, s24
	s_mul_hi_u32 s24, s7, s21
	s_mul_i32 s7, s7, s21
	s_mul_hi_u32 s26, s3, s21
	s_add_u32 s7, s23, s7
	s_addc_u32 s23, 0, s24
	s_add_u32 s7, s7, s22
	s_mul_i32 s21, s3, s21
	s_addc_u32 s7, s23, s25
	s_addc_u32 s22, s26, 0
	s_add_u32 s7, s7, s21
	s_addc_u32 s21, 0, s22
	v_add_co_u32 v1, s7, v1, s7
	s_delay_alu instid0(VALU_DEP_1) | instskip(SKIP_1) | instid1(VALU_DEP_1)
	s_cmp_lg_u32 s7, 0
	s_addc_u32 s3, s3, s21
	v_readfirstlane_b32 s7, v1
	s_mul_i32 s21, s14, s3
	s_delay_alu instid0(VALU_DEP_1)
	s_mul_hi_u32 s22, s14, s7
	s_mul_i32 s20, s20, s7
	s_add_i32 s21, s22, s21
	s_mul_i32 s14, s14, s7
	s_add_i32 s21, s21, s20
	s_mul_hi_u32 s22, s3, s14
	s_mul_i32 s23, s3, s14
	s_mul_hi_u32 s14, s7, s14
	s_mul_hi_u32 s24, s7, s21
	s_mul_i32 s7, s7, s21
	s_mul_hi_u32 s20, s3, s21
	s_add_u32 s7, s14, s7
	s_addc_u32 s14, 0, s24
	s_add_u32 s7, s7, s23
	s_mul_i32 s21, s3, s21
	s_addc_u32 s7, s14, s22
	s_addc_u32 s14, s20, 0
	s_add_u32 s7, s7, s21
	s_addc_u32 s14, 0, s14
	v_add_co_u32 v1, s7, v1, s7
	s_delay_alu instid0(VALU_DEP_1) | instskip(SKIP_2) | instid1(VALU_DEP_1)
	s_cmp_lg_u32 s7, 0
	s_addc_u32 s3, s3, s14
	s_ashr_i32 s20, s11, 31
	v_readfirstlane_b32 s7, v1
	s_add_u32 s22, s10, s20
	s_mov_b32 s21, s20
	s_addc_u32 s23, s11, s20
	s_delay_alu instid0(SALU_CYCLE_1) | instskip(NEXT) | instid1(SALU_CYCLE_1)
	s_xor_b64 s[22:23], s[22:23], s[20:21]
	s_mul_i32 s24, s22, s3
	s_mul_hi_u32 s25, s22, s7
	s_mul_hi_u32 s14, s22, s3
	;; [unrolled: 1-line block ×3, first 2 shown]
	s_mul_i32 s7, s23, s7
	s_add_u32 s24, s25, s24
	s_addc_u32 s14, 0, s14
	s_mul_hi_u32 s26, s23, s3
	s_add_u32 s7, s24, s7
	s_mul_i32 s3, s23, s3
	s_addc_u32 s7, s14, s27
	s_addc_u32 s14, s26, 0
	s_add_u32 s3, s7, s3
	s_addc_u32 s7, 0, s14
	s_mul_i32 s26, s18, s3
	s_mul_hi_u32 s14, s18, s3
	s_mul_i32 s25, s18, s7
	v_sub_co_u32 v1, s22, s22, s26
	s_mul_i32 s24, s19, s3
	s_add_i32 s14, s14, s25
	s_delay_alu instid0(SALU_CYCLE_1) | instskip(NEXT) | instid1(VALU_DEP_1)
	s_add_i32 s14, s14, s24
	v_sub_co_u32 v2, s25, v1, s18
	s_sub_i32 s24, s23, s14
	s_cmp_lg_u32 s22, 0
	s_subb_u32 s24, s24, s19
	s_cmp_lg_u32 s25, 0
	v_readfirstlane_b32 s25, v2
	s_subb_u32 s24, s24, 0
	s_delay_alu instid0(SALU_CYCLE_1) | instskip(SKIP_1) | instid1(VALU_DEP_1)
	s_cmp_ge_u32 s24, s19
	s_cselect_b32 s26, -1, 0
	s_cmp_ge_u32 s25, s18
	s_cselect_b32 s25, -1, 0
	s_cmp_eq_u32 s24, s19
	s_cselect_b32 s24, s25, s26
	s_add_u32 s25, s3, 1
	s_addc_u32 s26, s7, 0
	s_add_u32 s27, s3, 2
	s_addc_u32 s28, s7, 0
	s_cmp_lg_u32 s24, 0
	s_cselect_b32 s24, s27, s25
	s_cselect_b32 s25, s28, s26
	s_cmp_lg_u32 s22, 0
	v_readfirstlane_b32 s22, v1
	s_subb_u32 s14, s23, s14
	s_delay_alu instid0(SALU_CYCLE_1) | instskip(SKIP_1) | instid1(VALU_DEP_1)
	s_cmp_ge_u32 s14, s19
	s_cselect_b32 s23, -1, 0
	s_cmp_ge_u32 s22, s18
	s_cselect_b32 s18, -1, 0
	s_cmp_eq_u32 s14, s19
	s_cselect_b32 s14, s18, s23
	s_delay_alu instid0(SALU_CYCLE_1) | instskip(SKIP_3) | instid1(SALU_CYCLE_1)
	s_cmp_lg_u32 s14, 0
	s_cselect_b32 s19, s25, s7
	s_cselect_b32 s18, s24, s3
	s_xor_b64 s[16:17], s[20:21], s[16:17]
	s_xor_b64 s[18:19], s[18:19], s[16:17]
	s_delay_alu instid0(SALU_CYCLE_1)
	s_sub_u32 s16, s18, s16
	s_subb_u32 s17, s19, s17
	s_and_not1_b32 vcc_lo, exec_lo, s2
	s_cbranch_vccnz .LBB7_3
.LBB7_2:
	v_cvt_f32_u32_e32 v1, s12
	s_sub_i32 s3, 0, s12
	s_mov_b32 s17, 0
	s_delay_alu instid0(VALU_DEP_1) | instskip(SKIP_2) | instid1(VALU_DEP_1)
	v_rcp_iflag_f32_e32 v1, v1
	s_waitcnt_depctr 0xfff
	v_mul_f32_e32 v1, 0x4f7ffffe, v1
	v_cvt_u32_f32_e32 v1, v1
	s_delay_alu instid0(VALU_DEP_1) | instskip(NEXT) | instid1(VALU_DEP_1)
	v_readfirstlane_b32 s2, v1
	s_mul_i32 s3, s3, s2
	s_delay_alu instid0(SALU_CYCLE_1) | instskip(NEXT) | instid1(SALU_CYCLE_1)
	s_mul_hi_u32 s3, s2, s3
	s_add_i32 s2, s2, s3
	s_delay_alu instid0(SALU_CYCLE_1) | instskip(NEXT) | instid1(SALU_CYCLE_1)
	s_mul_hi_u32 s2, s10, s2
	s_mul_i32 s3, s2, s12
	s_add_i32 s7, s2, 1
	s_sub_i32 s3, s10, s3
	s_delay_alu instid0(SALU_CYCLE_1)
	s_sub_i32 s14, s3, s12
	s_cmp_ge_u32 s3, s12
	s_cselect_b32 s2, s7, s2
	s_cselect_b32 s3, s14, s3
	s_add_i32 s7, s2, 1
	s_cmp_ge_u32 s3, s12
	s_cselect_b32 s16, s7, s2
.LBB7_3:
	s_delay_alu instid0(SALU_CYCLE_1) | instskip(SKIP_4) | instid1(SALU_CYCLE_1)
	s_mul_i32 s2, s16, s13
	s_mul_hi_u32 s3, s16, s12
	s_mul_i32 s7, s16, s12
	s_add_i32 s2, s3, s2
	s_mul_i32 s3, s17, s12
	s_add_i32 s2, s2, s3
	s_sub_u32 s3, s10, s7
	s_subb_u32 s2, s11, s2
	s_ashr_i32 s7, s4, 31
	s_mul_hi_u32 s17, s3, s4
	s_mul_i32 s14, s3, s7
	s_mul_i32 s2, s2, s4
	s_add_i32 s14, s17, s14
	s_mul_i32 s18, s3, s4
	s_add_i32 s19, s14, s2
	s_mov_b32 s14, s4
	s_or_b64 s[20:21], s[18:19], s[12:13]
	s_mov_b32 s20, 0
	s_delay_alu instid0(SALU_CYCLE_1)
	s_cmp_lg_u64 s[20:21], 0
	s_cbranch_scc0 .LBB7_56
; %bb.4:
	s_add_u32 s2, s12, s13
	s_mov_b32 s22, s13
	s_mov_b32 s23, s13
	s_addc_u32 s3, s13, s13
	s_delay_alu instid0(SALU_CYCLE_1) | instskip(NEXT) | instid1(SALU_CYCLE_1)
	s_xor_b64 s[2:3], s[2:3], s[22:23]
	v_cvt_f32_u32_e32 v1, s2
	v_cvt_f32_u32_e32 v2, s3
	s_sub_u32 s24, 0, s2
	s_subb_u32 s25, 0, s3
	s_delay_alu instid0(VALU_DEP_1) | instskip(NEXT) | instid1(VALU_DEP_1)
	v_fmamk_f32 v1, v2, 0x4f800000, v1
	v_rcp_f32_e32 v1, v1
	s_waitcnt_depctr 0xfff
	v_mul_f32_e32 v1, 0x5f7ffffc, v1
	s_delay_alu instid0(VALU_DEP_1) | instskip(NEXT) | instid1(VALU_DEP_1)
	v_mul_f32_e32 v2, 0x2f800000, v1
	v_trunc_f32_e32 v2, v2
	s_delay_alu instid0(VALU_DEP_1) | instskip(SKIP_1) | instid1(VALU_DEP_2)
	v_fmamk_f32 v1, v2, 0xcf800000, v1
	v_cvt_u32_f32_e32 v2, v2
	v_cvt_u32_f32_e32 v1, v1
	s_delay_alu instid0(VALU_DEP_2) | instskip(NEXT) | instid1(VALU_DEP_2)
	v_readfirstlane_b32 s17, v2
	v_readfirstlane_b32 s21, v1
	s_delay_alu instid0(VALU_DEP_2) | instskip(NEXT) | instid1(VALU_DEP_1)
	s_mul_i32 s26, s24, s17
	s_mul_hi_u32 s28, s24, s21
	s_mul_i32 s27, s25, s21
	s_add_i32 s26, s28, s26
	s_mul_i32 s29, s24, s21
	s_add_i32 s26, s26, s27
	s_mul_hi_u32 s28, s21, s29
	s_mul_hi_u32 s30, s17, s29
	s_mul_i32 s27, s17, s29
	s_mul_hi_u32 s29, s21, s26
	s_mul_i32 s21, s21, s26
	s_mul_hi_u32 s31, s17, s26
	s_add_u32 s21, s28, s21
	s_addc_u32 s28, 0, s29
	s_add_u32 s21, s21, s27
	s_mul_i32 s26, s17, s26
	s_addc_u32 s21, s28, s30
	s_addc_u32 s27, s31, 0
	s_add_u32 s21, s21, s26
	s_addc_u32 s26, 0, s27
	v_add_co_u32 v1, s21, v1, s21
	s_delay_alu instid0(VALU_DEP_1) | instskip(SKIP_1) | instid1(VALU_DEP_1)
	s_cmp_lg_u32 s21, 0
	s_addc_u32 s17, s17, s26
	v_readfirstlane_b32 s21, v1
	s_mul_i32 s26, s24, s17
	s_delay_alu instid0(VALU_DEP_1)
	s_mul_hi_u32 s27, s24, s21
	s_mul_i32 s25, s25, s21
	s_add_i32 s26, s27, s26
	s_mul_i32 s24, s24, s21
	s_add_i32 s26, s26, s25
	s_mul_hi_u32 s27, s17, s24
	s_mul_i32 s28, s17, s24
	s_mul_hi_u32 s24, s21, s24
	s_mul_hi_u32 s29, s21, s26
	s_mul_i32 s21, s21, s26
	s_mul_hi_u32 s25, s17, s26
	s_add_u32 s21, s24, s21
	s_addc_u32 s24, 0, s29
	s_add_u32 s21, s21, s28
	s_mul_i32 s26, s17, s26
	s_addc_u32 s21, s24, s27
	s_addc_u32 s24, s25, 0
	s_add_u32 s21, s21, s26
	s_addc_u32 s24, 0, s24
	v_add_co_u32 v1, s21, v1, s21
	s_delay_alu instid0(VALU_DEP_1) | instskip(SKIP_2) | instid1(VALU_DEP_1)
	s_cmp_lg_u32 s21, 0
	s_addc_u32 s17, s17, s24
	s_ashr_i32 s24, s19, 31
	v_readfirstlane_b32 s21, v1
	s_add_u32 s26, s18, s24
	s_mov_b32 s25, s24
	s_addc_u32 s27, s19, s24
	s_delay_alu instid0(SALU_CYCLE_1) | instskip(NEXT) | instid1(SALU_CYCLE_1)
	s_xor_b64 s[26:27], s[26:27], s[24:25]
	s_mul_i32 s29, s26, s17
	s_mul_hi_u32 s30, s26, s21
	s_mul_hi_u32 s28, s26, s17
	;; [unrolled: 1-line block ×3, first 2 shown]
	s_mul_i32 s21, s27, s21
	s_add_u32 s29, s30, s29
	s_addc_u32 s28, 0, s28
	s_mul_hi_u32 s31, s27, s17
	s_add_u32 s21, s29, s21
	s_mul_i32 s17, s27, s17
	s_addc_u32 s21, s28, s33
	s_addc_u32 s28, s31, 0
	s_add_u32 s17, s21, s17
	s_addc_u32 s21, 0, s28
	s_mul_hi_u32 s28, s2, s17
	s_mul_i32 s21, s2, s21
	s_mul_i32 s30, s2, s17
	;; [unrolled: 1-line block ×3, first 2 shown]
	s_add_i32 s21, s28, s21
	v_sub_co_u32 v1, s26, s26, s30
	s_add_i32 s21, s21, s29
	s_delay_alu instid0(SALU_CYCLE_1) | instskip(SKIP_1) | instid1(VALU_DEP_1)
	s_sub_i32 s28, s27, s21
	s_cmp_lg_u32 s26, 0
	v_sub_co_u32 v2, s29, v1, s2
	s_subb_u32 s28, s28, s3
	s_cmp_lg_u32 s29, 0
	s_subb_u32 s28, s28, 0
	s_delay_alu instid0(VALU_DEP_1)
	v_cmp_le_u32_e32 vcc_lo, s2, v2
	s_cmp_ge_u32 s28, s3
	v_cmp_le_u32_e64 s2, s2, v1
	s_cselect_b32 s29, -1, 0
	s_cmp_eq_u32 s28, s3
	v_cndmask_b32_e64 v2, 0, -1, vcc_lo
	s_cselect_b32 vcc_lo, -1, 0
	s_add_u32 s28, s17, 1
	s_add_u32 s30, s17, 2
	s_cmp_lg_u32 s26, 0
	v_mov_b32_e32 v3, s30
	v_cndmask_b32_e64 v1, 0, -1, s2
	s_subb_u32 s2, s27, s21
	v_cndmask_b32_e32 v2, s29, v2, vcc_lo
	s_cmp_ge_u32 s2, s3
	s_cselect_b32 s21, -1, 0
	s_cmp_eq_u32 s2, s3
	s_cselect_b32 vcc_lo, -1, 0
	s_xor_b64 s[2:3], s[24:25], s[22:23]
	v_cndmask_b32_e32 v1, s21, v1, vcc_lo
	v_cmp_ne_u32_e32 vcc_lo, 0, v2
	v_cndmask_b32_e32 v2, s28, v3, vcc_lo
	s_delay_alu instid0(VALU_DEP_3) | instskip(NEXT) | instid1(VALU_DEP_2)
	v_cmp_ne_u32_e32 vcc_lo, 0, v1
	v_cndmask_b32_e32 v1, s17, v2, vcc_lo
	s_delay_alu instid0(VALU_DEP_1) | instskip(NEXT) | instid1(VALU_DEP_1)
	v_xor_b32_e32 v1, s2, v1
	v_sub_co_u32 v3, vcc_lo, v1, s2
	s_load_b32 s23, s[0:1], 0x3c
	s_and_not1_b32 vcc_lo, exec_lo, s20
	s_cbranch_vccnz .LBB7_6
.LBB7_5:
	v_cvt_f32_u32_e32 v1, s12
	s_sub_i32 s2, 0, s12
	s_delay_alu instid0(VALU_DEP_1) | instskip(SKIP_2) | instid1(VALU_DEP_1)
	v_rcp_iflag_f32_e32 v1, v1
	s_waitcnt_depctr 0xfff
	v_mul_f32_e32 v1, 0x4f7ffffe, v1
	v_cvt_u32_f32_e32 v1, v1
	s_delay_alu instid0(VALU_DEP_1) | instskip(NEXT) | instid1(VALU_DEP_1)
	v_mul_lo_u32 v2, s2, v1
	v_mul_hi_u32 v2, v1, v2
	s_delay_alu instid0(VALU_DEP_1) | instskip(NEXT) | instid1(VALU_DEP_1)
	v_add_nc_u32_e32 v1, v1, v2
	v_mul_hi_u32 v1, s18, v1
	s_delay_alu instid0(VALU_DEP_1) | instskip(SKIP_1) | instid1(VALU_DEP_2)
	v_mul_lo_u32 v2, v1, s12
	v_add_nc_u32_e32 v3, 1, v1
	v_sub_nc_u32_e32 v2, s18, v2
	s_delay_alu instid0(VALU_DEP_1) | instskip(SKIP_1) | instid1(VALU_DEP_2)
	v_subrev_nc_u32_e32 v4, s12, v2
	v_cmp_le_u32_e32 vcc_lo, s12, v2
	v_dual_cndmask_b32 v2, v2, v4 :: v_dual_cndmask_b32 v1, v1, v3
	s_delay_alu instid0(VALU_DEP_1) | instskip(NEXT) | instid1(VALU_DEP_2)
	v_cmp_le_u32_e32 vcc_lo, s12, v2
	v_add_nc_u32_e32 v3, 1, v1
	s_delay_alu instid0(VALU_DEP_1)
	v_cndmask_b32_e32 v3, v1, v3, vcc_lo
.LBB7_6:
	v_bfe_u32 v4, v0, 10, 10
	s_waitcnt lgkmcnt(0)
	s_lshr_b32 s22, s23, 16
	s_mov_b32 s2, exec_lo
	s_delay_alu instid0(VALU_DEP_1) | instskip(NEXT) | instid1(VALU_DEP_1)
	v_mad_u64_u32 v[1:2], null, s15, s22, v[4:5]
	v_cmpx_gt_i32_e64 s8, v1
	s_cbranch_execz .LBB7_54
; %bb.7:
	s_add_u32 s2, s18, s14
	s_addc_u32 s3, s19, s7
	s_add_u32 s14, s2, -1
	s_addc_u32 s15, s3, -1
	s_delay_alu instid0(SALU_CYCLE_1) | instskip(SKIP_1) | instid1(SALU_CYCLE_1)
	s_or_b64 s[18:19], s[14:15], s[12:13]
	s_mov_b32 s18, 0
	s_cmp_lg_u64 s[18:19], 0
	s_cbranch_scc0 .LBB7_57
; %bb.8:
	s_add_u32 s2, s12, s13
	s_mov_b32 s20, s13
	s_mov_b32 s21, s13
	s_addc_u32 s3, s13, s13
	s_delay_alu instid0(SALU_CYCLE_1) | instskip(NEXT) | instid1(SALU_CYCLE_1)
	s_xor_b64 s[2:3], s[2:3], s[20:21]
	v_cvt_f32_u32_e32 v2, s2
	v_cvt_f32_u32_e32 v4, s3
	s_sub_u32 s17, 0, s2
	s_subb_u32 s19, 0, s3
	s_delay_alu instid0(VALU_DEP_1) | instskip(NEXT) | instid1(VALU_DEP_1)
	v_fmamk_f32 v2, v4, 0x4f800000, v2
	v_rcp_f32_e32 v2, v2
	s_waitcnt_depctr 0xfff
	v_mul_f32_e32 v2, 0x5f7ffffc, v2
	s_delay_alu instid0(VALU_DEP_1) | instskip(NEXT) | instid1(VALU_DEP_1)
	v_mul_f32_e32 v4, 0x2f800000, v2
	v_trunc_f32_e32 v4, v4
	s_delay_alu instid0(VALU_DEP_1) | instskip(SKIP_1) | instid1(VALU_DEP_2)
	v_fmamk_f32 v2, v4, 0xcf800000, v2
	v_cvt_u32_f32_e32 v4, v4
	v_cvt_u32_f32_e32 v2, v2
	s_delay_alu instid0(VALU_DEP_2) | instskip(NEXT) | instid1(VALU_DEP_2)
	v_readfirstlane_b32 s7, v4
	v_readfirstlane_b32 s13, v2
	s_delay_alu instid0(VALU_DEP_2) | instskip(NEXT) | instid1(VALU_DEP_1)
	s_mul_i32 s24, s17, s7
	s_mul_hi_u32 s26, s17, s13
	s_mul_i32 s25, s19, s13
	s_add_i32 s24, s26, s24
	s_mul_i32 s27, s17, s13
	s_add_i32 s24, s24, s25
	s_mul_hi_u32 s26, s13, s27
	s_mul_hi_u32 s28, s7, s27
	s_mul_i32 s25, s7, s27
	s_mul_hi_u32 s27, s13, s24
	s_mul_i32 s13, s13, s24
	s_mul_hi_u32 s29, s7, s24
	s_add_u32 s13, s26, s13
	s_addc_u32 s26, 0, s27
	s_add_u32 s13, s13, s25
	s_mul_i32 s24, s7, s24
	s_addc_u32 s13, s26, s28
	s_addc_u32 s25, s29, 0
	s_add_u32 s13, s13, s24
	s_addc_u32 s24, 0, s25
	v_add_co_u32 v2, s13, v2, s13
	s_delay_alu instid0(VALU_DEP_1) | instskip(SKIP_1) | instid1(VALU_DEP_1)
	s_cmp_lg_u32 s13, 0
	s_addc_u32 s7, s7, s24
	v_readfirstlane_b32 s13, v2
	s_mul_i32 s24, s17, s7
	s_delay_alu instid0(VALU_DEP_1)
	s_mul_hi_u32 s25, s17, s13
	s_mul_i32 s19, s19, s13
	s_add_i32 s24, s25, s24
	s_mul_i32 s17, s17, s13
	s_add_i32 s24, s24, s19
	s_mul_hi_u32 s25, s7, s17
	s_mul_i32 s26, s7, s17
	s_mul_hi_u32 s17, s13, s17
	s_mul_hi_u32 s27, s13, s24
	s_mul_i32 s13, s13, s24
	s_mul_hi_u32 s19, s7, s24
	s_add_u32 s13, s17, s13
	s_addc_u32 s17, 0, s27
	s_add_u32 s13, s13, s26
	s_mul_i32 s24, s7, s24
	s_addc_u32 s13, s17, s25
	s_addc_u32 s17, s19, 0
	s_add_u32 s13, s13, s24
	s_addc_u32 s17, 0, s17
	v_add_co_u32 v2, s13, v2, s13
	s_delay_alu instid0(VALU_DEP_1) | instskip(SKIP_2) | instid1(VALU_DEP_1)
	s_cmp_lg_u32 s13, 0
	s_addc_u32 s7, s7, s17
	s_ashr_i32 s24, s15, 31
	v_readfirstlane_b32 s13, v2
	s_add_u32 s26, s14, s24
	s_mov_b32 s25, s24
	s_addc_u32 s27, s15, s24
	s_delay_alu instid0(SALU_CYCLE_1) | instskip(NEXT) | instid1(SALU_CYCLE_1)
	s_xor_b64 s[26:27], s[26:27], s[24:25]
	s_mul_i32 s17, s26, s7
	s_mul_hi_u32 s19, s26, s13
	s_mul_hi_u32 s15, s26, s7
	;; [unrolled: 1-line block ×3, first 2 shown]
	s_mul_i32 s13, s27, s13
	s_add_u32 s17, s19, s17
	s_addc_u32 s15, 0, s15
	s_mul_hi_u32 s28, s27, s7
	s_add_u32 s13, s17, s13
	s_mul_i32 s7, s27, s7
	s_addc_u32 s13, s15, s29
	s_addc_u32 s15, s28, 0
	s_add_u32 s7, s13, s7
	s_addc_u32 s13, 0, s15
	s_mul_hi_u32 s15, s2, s7
	s_mul_i32 s13, s2, s13
	s_mul_i32 s19, s2, s7
	;; [unrolled: 1-line block ×3, first 2 shown]
	s_add_i32 s13, s15, s13
	v_sub_co_u32 v2, s15, s26, s19
	s_add_i32 s13, s13, s17
	s_delay_alu instid0(SALU_CYCLE_1) | instskip(SKIP_1) | instid1(VALU_DEP_1)
	s_sub_i32 s17, s27, s13
	s_cmp_lg_u32 s15, 0
	v_sub_co_u32 v4, s19, v2, s2
	s_subb_u32 s17, s17, s3
	s_cmp_lg_u32 s19, 0
	s_subb_u32 s17, s17, 0
	s_delay_alu instid0(VALU_DEP_1)
	v_cmp_le_u32_e32 vcc_lo, s2, v4
	s_cmp_ge_u32 s17, s3
	v_cmp_le_u32_e64 s2, s2, v2
	s_cselect_b32 s19, -1, 0
	s_cmp_eq_u32 s17, s3
	v_cndmask_b32_e64 v4, 0, -1, vcc_lo
	s_cselect_b32 vcc_lo, -1, 0
	s_add_u32 s17, s7, 1
	s_add_u32 s26, s7, 2
	s_cmp_lg_u32 s15, 0
	v_mov_b32_e32 v5, s26
	v_cndmask_b32_e64 v2, 0, -1, s2
	s_subb_u32 s2, s27, s13
	v_cndmask_b32_e32 v4, s19, v4, vcc_lo
	s_cmp_ge_u32 s2, s3
	s_cselect_b32 s13, -1, 0
	s_cmp_eq_u32 s2, s3
	s_cselect_b32 vcc_lo, -1, 0
	s_xor_b64 s[2:3], s[24:25], s[20:21]
	v_cndmask_b32_e32 v2, s13, v2, vcc_lo
	v_cmp_ne_u32_e32 vcc_lo, 0, v4
	v_cndmask_b32_e32 v4, s17, v5, vcc_lo
	s_delay_alu instid0(VALU_DEP_3) | instskip(NEXT) | instid1(VALU_DEP_2)
	v_cmp_ne_u32_e32 vcc_lo, 0, v2
	v_cndmask_b32_e32 v2, s7, v4, vcc_lo
	s_delay_alu instid0(VALU_DEP_1) | instskip(NEXT) | instid1(VALU_DEP_1)
	v_xor_b32_e32 v2, s2, v2
	v_sub_co_u32 v4, vcc_lo, v2, s2
	s_load_b32 s21, s[0:1], 0x34
	s_and_not1_b32 vcc_lo, exec_lo, s18
	s_cbranch_vccnz .LBB7_10
.LBB7_9:
	v_cvt_f32_u32_e32 v2, s12
	s_sub_i32 s2, 0, s12
	s_delay_alu instid0(VALU_DEP_1) | instskip(SKIP_2) | instid1(VALU_DEP_1)
	v_rcp_iflag_f32_e32 v2, v2
	s_waitcnt_depctr 0xfff
	v_mul_f32_e32 v2, 0x4f7ffffe, v2
	v_cvt_u32_f32_e32 v2, v2
	s_delay_alu instid0(VALU_DEP_1) | instskip(NEXT) | instid1(VALU_DEP_1)
	v_mul_lo_u32 v4, s2, v2
	v_mul_hi_u32 v4, v2, v4
	s_delay_alu instid0(VALU_DEP_1) | instskip(NEXT) | instid1(VALU_DEP_1)
	v_add_nc_u32_e32 v2, v2, v4
	v_mul_hi_u32 v2, s14, v2
	s_delay_alu instid0(VALU_DEP_1) | instskip(SKIP_1) | instid1(VALU_DEP_2)
	v_mul_lo_u32 v4, v2, s12
	v_add_nc_u32_e32 v5, 1, v2
	v_sub_nc_u32_e32 v4, s14, v4
	s_delay_alu instid0(VALU_DEP_1) | instskip(SKIP_1) | instid1(VALU_DEP_2)
	v_subrev_nc_u32_e32 v6, s12, v4
	v_cmp_le_u32_e32 vcc_lo, s12, v4
	v_cndmask_b32_e32 v4, v4, v6, vcc_lo
	v_cndmask_b32_e32 v2, v2, v5, vcc_lo
	s_delay_alu instid0(VALU_DEP_2) | instskip(NEXT) | instid1(VALU_DEP_2)
	v_cmp_le_u32_e32 vcc_lo, s12, v4
	v_add_nc_u32_e32 v5, 1, v2
	s_delay_alu instid0(VALU_DEP_1)
	v_cndmask_b32_e32 v4, v2, v5, vcc_lo
.LBB7_10:
	s_load_b128 s[12:15], s[0:1], 0x0
	s_mul_i32 s0, s9, s8
	s_mul_hi_i32 s1, s9, s8
	s_mul_i32 s2, s0, s11
	s_mul_hi_u32 s3, s0, s10
	s_mul_i32 s1, s1, s10
	s_add_i32 s2, s3, s2
	s_mul_i32 s0, s0, s10
	s_add_i32 s1, s2, s1
	s_ashr_i32 s7, s8, 31
	s_lshl_b64 s[0:1], s[0:1], 1
	s_ashr_i32 s18, s9, 31
	s_mov_b32 s17, s8
	v_sub_nc_u32_e32 v7, v4, v3
	v_cvt_f32_u32_e32 v5, s17
	s_mul_i32 s2, s6, s5
	v_and_b32_e32 v0, 0x3ff, v0
	s_waitcnt lgkmcnt(0)
	s_mul_i32 s21, s21, s22
	s_mov_b32 s22, s5
	v_rcp_iflag_f32_e32 v5, v5
	s_add_u32 s14, s14, s0
	s_addc_u32 s15, s15, s1
	s_ashr_i32 s19, s8, 31
	v_cmp_gt_u32_e64 s1, 0x7fffffff, v7
	s_add_i32 s0, s8, s19
	s_and_b32 s23, s23, 0xffff
	s_xor_b32 s20, s0, s19
	s_mul_i32 s0, s16, s4
	v_cvt_f32_u32_e32 v2, s20
	v_dual_mov_b32 v3, 0 :: v_dual_add_nc_u32 v6, s0, v3
	s_waitcnt_depctr 0xfff
	v_mul_f32_e32 v8, 0x4f7ffffe, v5
	s_sub_i32 s3, 0, s20
	v_rcp_iflag_f32_e32 v2, v2
	v_mul_lo_u32 v4, s2, v6
	v_add_nc_u32_e32 v6, 1, v7
	v_cvt_u32_f32_e32 v7, v8
	s_sub_i32 s4, 0, s8
	v_cmp_gt_i32_e64 s0, s9, v0
	s_mov_b32 s16, s9
	v_cvt_f32_i32_e32 v9, v6
	v_mul_lo_u32 v11, s4, v7
	v_ashrrev_i32_e32 v5, 31, v4
	v_mul_f32_e32 v2, 0x4f7ffffe, v2
	v_max_i32_e32 v13, 1, v6
	v_bfe_u32 v8, v9, 16, 1
	s_ashr_i32 s24, s5, 31
	v_lshlrev_b64 v[4:5], 1, v[4:5]
	v_cvt_u32_f32_e32 v2, v2
	s_ashr_i32 s25, s6, 31
	v_add_nc_u32_e32 v6, v9, v8
	v_mul_hi_u32 v9, v7, v11
	s_mov_b32 s26, 0
	v_mul_lo_u32 v10, s3, v2
	v_add_co_u32 v14, vcc_lo, s12, v4
	v_add_nc_u32_e32 v6, 0x7fff, v6
	v_add_co_ci_u32_e32 v15, vcc_lo, s13, v5, vcc_lo
	v_add_nc_u32_e32 v18, v7, v9
	s_ashr_i32 s3, s2, 31
	v_mul_hi_u32 v8, v2, v10
	v_and_b32_e32 v16, 0xffff0000, v6
	s_lshl_b64 s[10:11], s[2:3], 1
	s_delay_alu instid0(VALU_DEP_2)
	v_add_nc_u32_e32 v17, v2, v8
	s_branch .LBB7_12
.LBB7_11:                               ;   in Loop: Header=BB7_12 Depth=1
	s_or_b32 exec_lo, exec_lo, s27
	v_add_nc_u32_e32 v1, s21, v1
	s_delay_alu instid0(VALU_DEP_1) | instskip(SKIP_1) | instid1(SALU_CYCLE_1)
	v_cmp_le_i32_e32 vcc_lo, s8, v1
	s_or_b32 s26, vcc_lo, s26
	s_and_not1_b32 exec_lo, exec_lo, s26
	s_cbranch_execz .LBB7_54
.LBB7_12:                               ; =>This Loop Header: Depth=1
                                        ;     Child Loop BB7_27 Depth 2
                                        ;       Child Loop BB7_42 Depth 3
                                        ;         Child Loop BB7_45 Depth 4
                                        ;           Child Loop BB7_48 Depth 5
                                        ;             Child Loop BB7_50 Depth 6
	v_ashrrev_i32_e32 v9, 31, v1
	v_mov_b32_e32 v4, v3
	s_delay_alu instid0(VALU_DEP_2) | instskip(NEXT) | instid1(VALU_DEP_1)
	v_or_b32_e32 v5, s7, v9
	v_cmp_ne_u64_e32 vcc_lo, 0, v[4:5]
                                        ; implicit-def: $vgpr4_vgpr5
	s_and_saveexec_b32 s2, vcc_lo
	s_delay_alu instid0(SALU_CYCLE_1)
	s_xor_b32 s2, exec_lo, s2
	s_cbranch_execz .LBB7_14
; %bb.13:                               ;   in Loop: Header=BB7_12 Depth=1
	v_ashrrev_i32_e32 v2, 31, v1
	s_delay_alu instid0(VALU_DEP_1) | instskip(NEXT) | instid1(VALU_DEP_1)
	v_add_nc_u32_e32 v4, v1, v2
	v_xor_b32_e32 v4, v4, v2
	v_xor_b32_e32 v2, s19, v2
	s_delay_alu instid0(VALU_DEP_2) | instskip(NEXT) | instid1(VALU_DEP_1)
	v_mul_hi_u32 v5, v4, v17
	v_mul_lo_u32 v6, v5, s20
	s_delay_alu instid0(VALU_DEP_1) | instskip(SKIP_1) | instid1(VALU_DEP_2)
	v_sub_nc_u32_e32 v4, v4, v6
	v_add_nc_u32_e32 v6, 1, v5
	v_subrev_nc_u32_e32 v7, s20, v4
	v_cmp_le_u32_e32 vcc_lo, s20, v4
	s_delay_alu instid0(VALU_DEP_2) | instskip(NEXT) | instid1(VALU_DEP_1)
	v_dual_cndmask_b32 v4, v4, v7 :: v_dual_cndmask_b32 v5, v5, v6
	v_cmp_le_u32_e32 vcc_lo, s20, v4
	s_delay_alu instid0(VALU_DEP_2) | instskip(NEXT) | instid1(VALU_DEP_1)
	v_add_nc_u32_e32 v6, 1, v5
	v_cndmask_b32_e32 v4, v5, v6, vcc_lo
	s_delay_alu instid0(VALU_DEP_1) | instskip(NEXT) | instid1(VALU_DEP_1)
	v_xor_b32_e32 v4, v4, v2
	v_sub_nc_u32_e32 v4, v4, v2
	s_delay_alu instid0(VALU_DEP_1)
	v_ashrrev_i32_e32 v5, 31, v4
.LBB7_14:                               ;   in Loop: Header=BB7_12 Depth=1
	s_and_not1_saveexec_b32 s2, s2
	s_cbranch_execz .LBB7_16
; %bb.15:                               ;   in Loop: Header=BB7_12 Depth=1
	v_mul_hi_u32 v2, v1, v18
	s_delay_alu instid0(VALU_DEP_1) | instskip(SKIP_1) | instid1(VALU_DEP_2)
	v_mul_lo_u32 v4, v2, s17
	v_add_nc_u32_e32 v5, 1, v2
	v_sub_nc_u32_e32 v4, v1, v4
	s_delay_alu instid0(VALU_DEP_1) | instskip(SKIP_1) | instid1(VALU_DEP_2)
	v_subrev_nc_u32_e32 v6, s17, v4
	v_cmp_le_u32_e32 vcc_lo, s17, v4
	v_cndmask_b32_e32 v4, v4, v6, vcc_lo
	v_cndmask_b32_e32 v2, v2, v5, vcc_lo
	s_delay_alu instid0(VALU_DEP_2) | instskip(NEXT) | instid1(VALU_DEP_2)
	v_cmp_le_u32_e32 vcc_lo, s17, v4
	v_add_nc_u32_e32 v5, 1, v2
	s_delay_alu instid0(VALU_DEP_1) | instskip(NEXT) | instid1(VALU_DEP_1)
	v_cndmask_b32_e32 v2, v2, v5, vcc_lo
	v_dual_mov_b32 v5, v3 :: v_dual_mov_b32 v4, v2
.LBB7_16:                               ;   in Loop: Header=BB7_12 Depth=1
	s_or_b32 exec_lo, exec_lo, s2
	s_delay_alu instid0(VALU_DEP_1) | instskip(NEXT) | instid1(VALU_DEP_2)
	v_mul_lo_u32 v2, v5, s17
	v_mul_lo_u32 v7, v4, s7
	v_mad_u64_u32 v[5:6], null, v4, s17, 0
	s_delay_alu instid0(VALU_DEP_1) | instskip(NEXT) | instid1(VALU_DEP_2)
	v_add3_u32 v2, v6, v7, v2
	v_sub_co_u32 v5, vcc_lo, v1, v5
	s_delay_alu instid0(VALU_DEP_2) | instskip(NEXT) | instid1(VALU_DEP_2)
	v_sub_co_ci_u32_e32 v2, vcc_lo, v9, v2, vcc_lo
	v_mul_lo_u32 v6, v5, s24
	v_mad_u64_u32 v[7:8], null, v5, s22, 0
	s_delay_alu instid0(VALU_DEP_3) | instskip(SKIP_1) | instid1(VALU_DEP_2)
	v_mul_lo_u32 v2, v2, s22
	v_mov_b32_e32 v5, v3
	v_add3_u32 v8, v8, v6, v2
	s_delay_alu instid0(VALU_DEP_1) | instskip(NEXT) | instid1(VALU_DEP_1)
	v_or_b32_e32 v6, s7, v8
	v_cmp_ne_u64_e32 vcc_lo, 0, v[5:6]
                                        ; implicit-def: $vgpr5_vgpr6
	s_and_saveexec_b32 s2, vcc_lo
	s_delay_alu instid0(SALU_CYCLE_1)
	s_xor_b32 s3, exec_lo, s2
	s_cbranch_execz .LBB7_18
; %bb.17:                               ;   in Loop: Header=BB7_12 Depth=1
	s_add_u32 s12, s17, s7
	s_mov_b32 s4, s7
	s_mov_b32 s5, s7
	s_addc_u32 s13, s7, s7
	s_delay_alu instid0(SALU_CYCLE_1) | instskip(NEXT) | instid1(SALU_CYCLE_1)
	s_xor_b64 s[12:13], s[12:13], s[4:5]
	v_cvt_f32_u32_e32 v2, s12
	v_cvt_f32_u32_e32 v5, s13
	s_sub_u32 s2, 0, s12
	s_subb_u32 s5, 0, s13
	s_delay_alu instid0(VALU_DEP_1) | instskip(NEXT) | instid1(VALU_DEP_1)
	v_fmac_f32_e32 v2, 0x4f800000, v5
	v_rcp_f32_e32 v2, v2
	s_waitcnt_depctr 0xfff
	v_mul_f32_e32 v2, 0x5f7ffffc, v2
	s_delay_alu instid0(VALU_DEP_1) | instskip(NEXT) | instid1(VALU_DEP_1)
	v_mul_f32_e32 v5, 0x2f800000, v2
	v_trunc_f32_e32 v5, v5
	s_delay_alu instid0(VALU_DEP_1) | instskip(SKIP_1) | instid1(VALU_DEP_2)
	v_fmac_f32_e32 v2, 0xcf800000, v5
	v_cvt_u32_f32_e32 v5, v5
	v_cvt_u32_f32_e32 v2, v2
	s_delay_alu instid0(VALU_DEP_2) | instskip(NEXT) | instid1(VALU_DEP_2)
	v_mul_lo_u32 v6, s2, v5
	v_mul_hi_u32 v10, s2, v2
	v_mul_lo_u32 v11, s5, v2
	s_delay_alu instid0(VALU_DEP_2) | instskip(SKIP_1) | instid1(VALU_DEP_2)
	v_add_nc_u32_e32 v6, v10, v6
	v_mul_lo_u32 v10, s2, v2
	v_add_nc_u32_e32 v6, v6, v11
	s_delay_alu instid0(VALU_DEP_2) | instskip(NEXT) | instid1(VALU_DEP_2)
	v_mul_hi_u32 v11, v2, v10
	v_mul_lo_u32 v12, v2, v6
	v_mul_hi_u32 v19, v2, v6
	v_mul_hi_u32 v20, v5, v10
	v_mul_lo_u32 v10, v5, v10
	v_mul_hi_u32 v21, v5, v6
	v_mul_lo_u32 v6, v5, v6
	v_add_co_u32 v11, vcc_lo, v11, v12
	v_add_co_ci_u32_e32 v12, vcc_lo, 0, v19, vcc_lo
	s_delay_alu instid0(VALU_DEP_2) | instskip(NEXT) | instid1(VALU_DEP_2)
	v_add_co_u32 v10, vcc_lo, v11, v10
	v_add_co_ci_u32_e32 v10, vcc_lo, v12, v20, vcc_lo
	v_add_co_ci_u32_e32 v11, vcc_lo, 0, v21, vcc_lo
	v_ashrrev_i32_e32 v20, 31, v8
	s_delay_alu instid0(VALU_DEP_3) | instskip(NEXT) | instid1(VALU_DEP_3)
	v_add_co_u32 v6, vcc_lo, v10, v6
	v_add_co_ci_u32_e32 v10, vcc_lo, 0, v11, vcc_lo
	s_delay_alu instid0(VALU_DEP_2) | instskip(NEXT) | instid1(VALU_DEP_2)
	v_add_co_u32 v2, vcc_lo, v2, v6
	v_add_co_ci_u32_e32 v5, vcc_lo, v5, v10, vcc_lo
	s_delay_alu instid0(VALU_DEP_2) | instskip(SKIP_1) | instid1(VALU_DEP_3)
	v_mul_hi_u32 v6, s2, v2
	v_mul_lo_u32 v11, s5, v2
	v_mul_lo_u32 v10, s2, v5
	s_delay_alu instid0(VALU_DEP_1) | instskip(SKIP_1) | instid1(VALU_DEP_2)
	v_add_nc_u32_e32 v6, v6, v10
	v_mul_lo_u32 v10, s2, v2
	v_add_nc_u32_e32 v6, v6, v11
	s_delay_alu instid0(VALU_DEP_2) | instskip(NEXT) | instid1(VALU_DEP_2)
	v_mul_hi_u32 v11, v2, v10
	v_mul_lo_u32 v12, v2, v6
	v_mul_hi_u32 v19, v2, v6
	v_mul_hi_u32 v21, v5, v10
	v_mul_lo_u32 v10, v5, v10
	v_mul_hi_u32 v22, v5, v6
	v_mul_lo_u32 v6, v5, v6
	v_add_co_u32 v11, vcc_lo, v11, v12
	v_add_co_ci_u32_e32 v12, vcc_lo, 0, v19, vcc_lo
	s_delay_alu instid0(VALU_DEP_2) | instskip(NEXT) | instid1(VALU_DEP_2)
	v_add_co_u32 v10, vcc_lo, v11, v10
	v_add_co_ci_u32_e32 v10, vcc_lo, v12, v21, vcc_lo
	v_add_co_ci_u32_e32 v11, vcc_lo, 0, v22, vcc_lo
	v_add_co_u32 v7, vcc_lo, v7, v20
	v_add_co_ci_u32_e32 v8, vcc_lo, v8, v20, vcc_lo
	s_delay_alu instid0(VALU_DEP_4) | instskip(NEXT) | instid1(VALU_DEP_4)
	v_add_co_u32 v6, vcc_lo, v10, v6
	v_add_co_ci_u32_e32 v10, vcc_lo, 0, v11, vcc_lo
	s_delay_alu instid0(VALU_DEP_4) | instskip(NEXT) | instid1(VALU_DEP_3)
	v_xor_b32_e32 v12, v7, v20
	v_add_co_u32 v2, vcc_lo, v2, v6
	s_delay_alu instid0(VALU_DEP_3) | instskip(SKIP_1) | instid1(VALU_DEP_3)
	v_add_co_ci_u32_e32 v19, vcc_lo, v5, v10, vcc_lo
	v_xor_b32_e32 v21, v8, v20
	v_mul_hi_u32 v22, v12, v2
	s_delay_alu instid0(VALU_DEP_3) | instskip(NEXT) | instid1(VALU_DEP_3)
	v_mad_u64_u32 v[5:6], null, v12, v19, 0
	v_mad_u64_u32 v[7:8], null, v21, v2, 0
	;; [unrolled: 1-line block ×3, first 2 shown]
	s_delay_alu instid0(VALU_DEP_3) | instskip(NEXT) | instid1(VALU_DEP_4)
	v_add_co_u32 v2, vcc_lo, v22, v5
	v_add_co_ci_u32_e32 v5, vcc_lo, 0, v6, vcc_lo
	s_delay_alu instid0(VALU_DEP_2) | instskip(NEXT) | instid1(VALU_DEP_2)
	v_add_co_u32 v2, vcc_lo, v2, v7
	v_add_co_ci_u32_e32 v2, vcc_lo, v5, v8, vcc_lo
	v_add_co_ci_u32_e32 v5, vcc_lo, 0, v11, vcc_lo
	s_delay_alu instid0(VALU_DEP_2) | instskip(NEXT) | instid1(VALU_DEP_2)
	v_add_co_u32 v2, vcc_lo, v2, v10
	v_add_co_ci_u32_e32 v7, vcc_lo, 0, v5, vcc_lo
	s_delay_alu instid0(VALU_DEP_2) | instskip(SKIP_1) | instid1(VALU_DEP_3)
	v_mul_lo_u32 v8, s13, v2
	v_mad_u64_u32 v[5:6], null, s12, v2, 0
	v_mul_lo_u32 v7, s12, v7
	s_delay_alu instid0(VALU_DEP_2) | instskip(NEXT) | instid1(VALU_DEP_2)
	v_sub_co_u32 v5, vcc_lo, v12, v5
	v_add3_u32 v6, v6, v7, v8
	v_add_co_u32 v8, s2, v2, 2
	s_delay_alu instid0(VALU_DEP_2) | instskip(NEXT) | instid1(VALU_DEP_1)
	v_sub_nc_u32_e32 v7, v21, v6
	v_subrev_co_ci_u32_e64 v7, s2, s13, v7, vcc_lo
	v_sub_co_u32 v10, s2, v5, s12
	v_sub_co_ci_u32_e32 v6, vcc_lo, v21, v6, vcc_lo
	s_delay_alu instid0(VALU_DEP_3) | instskip(NEXT) | instid1(VALU_DEP_3)
	v_subrev_co_ci_u32_e64 v7, s2, 0, v7, s2
	v_cmp_le_u32_e32 vcc_lo, s12, v10
	v_cndmask_b32_e64 v10, 0, -1, vcc_lo
	s_delay_alu instid0(VALU_DEP_3)
	v_cmp_le_u32_e32 vcc_lo, s13, v7
	v_cndmask_b32_e64 v11, 0, -1, vcc_lo
	v_cmp_le_u32_e32 vcc_lo, s12, v5
	v_cndmask_b32_e64 v5, 0, -1, vcc_lo
	;; [unrolled: 2-line block ×3, first 2 shown]
	v_cmp_eq_u32_e32 vcc_lo, s13, v7
	v_cndmask_b32_e32 v7, v11, v10, vcc_lo
	v_add_co_u32 v10, vcc_lo, v2, 1
	v_cmp_eq_u32_e32 vcc_lo, s13, v6
	v_cndmask_b32_e32 v5, v12, v5, vcc_lo
	s_delay_alu instid0(VALU_DEP_4) | instskip(NEXT) | instid1(VALU_DEP_4)
	v_cmp_ne_u32_e32 vcc_lo, 0, v7
	v_cndmask_b32_e32 v6, v10, v8, vcc_lo
	s_delay_alu instid0(VALU_DEP_3) | instskip(SKIP_1) | instid1(VALU_DEP_3)
	v_cmp_ne_u32_e32 vcc_lo, 0, v5
	v_xor_b32_e32 v5, s4, v20
                                        ; implicit-def: $vgpr7_vgpr8
	v_cndmask_b32_e32 v2, v2, v6, vcc_lo
	s_delay_alu instid0(VALU_DEP_1) | instskip(NEXT) | instid1(VALU_DEP_1)
	v_xor_b32_e32 v2, v2, v5
	v_sub_co_u32 v5, vcc_lo, v2, v5
.LBB7_18:                               ;   in Loop: Header=BB7_12 Depth=1
	s_and_not1_saveexec_b32 s2, s3
; %bb.19:                               ;   in Loop: Header=BB7_12 Depth=1
	v_mul_hi_u32 v2, v7, v18
	s_delay_alu instid0(VALU_DEP_1) | instskip(NEXT) | instid1(VALU_DEP_1)
	v_mul_lo_u32 v5, v2, s17
	v_sub_nc_u32_e32 v5, v7, v5
	s_delay_alu instid0(VALU_DEP_1) | instskip(SKIP_1) | instid1(VALU_DEP_2)
	v_subrev_nc_u32_e32 v7, s17, v5
	v_cmp_le_u32_e32 vcc_lo, s17, v5
	v_dual_cndmask_b32 v5, v5, v7 :: v_dual_add_nc_u32 v6, 1, v2
	s_delay_alu instid0(VALU_DEP_1) | instskip(NEXT) | instid1(VALU_DEP_2)
	v_cndmask_b32_e32 v2, v2, v6, vcc_lo
	v_cmp_le_u32_e32 vcc_lo, s17, v5
	s_delay_alu instid0(VALU_DEP_2) | instskip(NEXT) | instid1(VALU_DEP_1)
	v_add_nc_u32_e32 v6, 1, v2
	v_cndmask_b32_e32 v5, v2, v6, vcc_lo
; %bb.20:                               ;   in Loop: Header=BB7_12 Depth=1
	s_or_b32 exec_lo, exec_lo, s2
	v_add_co_u32 v2, vcc_lo, v1, 1
	v_add_co_ci_u32_e32 v6, vcc_lo, 0, v9, vcc_lo
	s_delay_alu instid0(VALU_DEP_2) | instskip(NEXT) | instid1(VALU_DEP_2)
	v_mul_lo_u32 v8, v2, s24
	v_mul_lo_u32 v9, v6, s22
	v_mad_u64_u32 v[6:7], null, v2, s22, -1
	s_delay_alu instid0(VALU_DEP_1) | instskip(SKIP_1) | instid1(VALU_DEP_2)
	v_add3_u32 v7, v9, v7, v8
	v_mov_b32_e32 v8, v3
	v_or_b32_e32 v9, s7, v7
	s_delay_alu instid0(VALU_DEP_1) | instskip(SKIP_1) | instid1(SALU_CYCLE_1)
	v_cmp_ne_u64_e32 vcc_lo, 0, v[8:9]
                                        ; implicit-def: $vgpr8_vgpr9
	s_and_saveexec_b32 s2, vcc_lo
	s_xor_b32 s3, exec_lo, s2
	s_cbranch_execnz .LBB7_23
; %bb.21:                               ;   in Loop: Header=BB7_12 Depth=1
	s_and_not1_saveexec_b32 s2, s3
	s_cbranch_execnz .LBB7_24
.LBB7_22:                               ;   in Loop: Header=BB7_12 Depth=1
	s_or_b32 exec_lo, exec_lo, s2
	s_and_saveexec_b32 s27, s0
	s_cbranch_execz .LBB7_11
	s_branch .LBB7_25
.LBB7_23:                               ;   in Loop: Header=BB7_12 Depth=1
	s_add_u32 s12, s17, s7
	s_mov_b32 s4, s7
	s_mov_b32 s5, s7
	s_addc_u32 s13, s7, s7
	s_delay_alu instid0(SALU_CYCLE_1) | instskip(NEXT) | instid1(SALU_CYCLE_1)
	s_xor_b64 s[12:13], s[12:13], s[4:5]
	v_cvt_f32_u32_e32 v2, s12
	v_cvt_f32_u32_e32 v8, s13
	s_sub_u32 s2, 0, s12
	s_subb_u32 s5, 0, s13
	s_delay_alu instid0(VALU_DEP_1) | instskip(NEXT) | instid1(VALU_DEP_1)
	v_fmac_f32_e32 v2, 0x4f800000, v8
	v_rcp_f32_e32 v2, v2
	s_waitcnt_depctr 0xfff
	v_mul_f32_e32 v2, 0x5f7ffffc, v2
	s_delay_alu instid0(VALU_DEP_1) | instskip(NEXT) | instid1(VALU_DEP_1)
	v_mul_f32_e32 v8, 0x2f800000, v2
	v_trunc_f32_e32 v8, v8
	s_delay_alu instid0(VALU_DEP_1) | instskip(SKIP_1) | instid1(VALU_DEP_2)
	v_fmac_f32_e32 v2, 0xcf800000, v8
	v_cvt_u32_f32_e32 v8, v8
	v_cvt_u32_f32_e32 v2, v2
	s_delay_alu instid0(VALU_DEP_2) | instskip(NEXT) | instid1(VALU_DEP_2)
	v_mul_lo_u32 v9, s2, v8
	v_mul_hi_u32 v10, s2, v2
	v_mul_lo_u32 v11, s5, v2
	s_delay_alu instid0(VALU_DEP_2) | instskip(SKIP_1) | instid1(VALU_DEP_2)
	v_add_nc_u32_e32 v9, v10, v9
	v_mul_lo_u32 v10, s2, v2
	v_add_nc_u32_e32 v9, v9, v11
	s_delay_alu instid0(VALU_DEP_2) | instskip(NEXT) | instid1(VALU_DEP_2)
	v_mul_hi_u32 v11, v2, v10
	v_mul_lo_u32 v12, v2, v9
	v_mul_hi_u32 v19, v2, v9
	v_mul_hi_u32 v20, v8, v10
	v_mul_lo_u32 v10, v8, v10
	v_mul_hi_u32 v21, v8, v9
	v_mul_lo_u32 v9, v8, v9
	v_add_co_u32 v11, vcc_lo, v11, v12
	v_add_co_ci_u32_e32 v12, vcc_lo, 0, v19, vcc_lo
	s_delay_alu instid0(VALU_DEP_2) | instskip(NEXT) | instid1(VALU_DEP_2)
	v_add_co_u32 v10, vcc_lo, v11, v10
	v_add_co_ci_u32_e32 v10, vcc_lo, v12, v20, vcc_lo
	v_add_co_ci_u32_e32 v11, vcc_lo, 0, v21, vcc_lo
	v_ashrrev_i32_e32 v20, 31, v7
	s_delay_alu instid0(VALU_DEP_3) | instskip(NEXT) | instid1(VALU_DEP_3)
	v_add_co_u32 v9, vcc_lo, v10, v9
	v_add_co_ci_u32_e32 v10, vcc_lo, 0, v11, vcc_lo
	s_delay_alu instid0(VALU_DEP_2) | instskip(NEXT) | instid1(VALU_DEP_2)
	v_add_co_u32 v2, vcc_lo, v2, v9
	v_add_co_ci_u32_e32 v8, vcc_lo, v8, v10, vcc_lo
	s_delay_alu instid0(VALU_DEP_2) | instskip(SKIP_1) | instid1(VALU_DEP_3)
	v_mul_hi_u32 v9, s2, v2
	v_mul_lo_u32 v11, s5, v2
	v_mul_lo_u32 v10, s2, v8
	s_delay_alu instid0(VALU_DEP_1) | instskip(SKIP_1) | instid1(VALU_DEP_2)
	v_add_nc_u32_e32 v9, v9, v10
	v_mul_lo_u32 v10, s2, v2
	v_add_nc_u32_e32 v9, v9, v11
	s_delay_alu instid0(VALU_DEP_2) | instskip(NEXT) | instid1(VALU_DEP_2)
	v_mul_hi_u32 v11, v2, v10
	v_mul_lo_u32 v12, v2, v9
	v_mul_hi_u32 v19, v2, v9
	v_mul_hi_u32 v21, v8, v10
	v_mul_lo_u32 v10, v8, v10
	v_mul_hi_u32 v22, v8, v9
	v_mul_lo_u32 v9, v8, v9
	v_add_co_u32 v11, vcc_lo, v11, v12
	v_add_co_ci_u32_e32 v12, vcc_lo, 0, v19, vcc_lo
	s_delay_alu instid0(VALU_DEP_2) | instskip(NEXT) | instid1(VALU_DEP_2)
	v_add_co_u32 v10, vcc_lo, v11, v10
	v_add_co_ci_u32_e32 v10, vcc_lo, v12, v21, vcc_lo
	v_add_co_ci_u32_e32 v11, vcc_lo, 0, v22, vcc_lo
	v_add_co_u32 v6, vcc_lo, v6, v20
	v_add_co_ci_u32_e32 v7, vcc_lo, v7, v20, vcc_lo
	s_delay_alu instid0(VALU_DEP_4) | instskip(NEXT) | instid1(VALU_DEP_4)
	v_add_co_u32 v9, vcc_lo, v10, v9
	v_add_co_ci_u32_e32 v10, vcc_lo, 0, v11, vcc_lo
	s_delay_alu instid0(VALU_DEP_4) | instskip(NEXT) | instid1(VALU_DEP_3)
	v_xor_b32_e32 v12, v6, v20
	v_add_co_u32 v2, vcc_lo, v2, v9
	s_delay_alu instid0(VALU_DEP_3) | instskip(SKIP_1) | instid1(VALU_DEP_3)
	v_add_co_ci_u32_e32 v19, vcc_lo, v8, v10, vcc_lo
	v_xor_b32_e32 v21, v7, v20
	v_mul_hi_u32 v22, v12, v2
	s_delay_alu instid0(VALU_DEP_3) | instskip(NEXT) | instid1(VALU_DEP_3)
	v_mad_u64_u32 v[6:7], null, v12, v19, 0
	v_mad_u64_u32 v[8:9], null, v21, v2, 0
	v_mad_u64_u32 v[10:11], null, v21, v19, 0
	s_delay_alu instid0(VALU_DEP_3) | instskip(NEXT) | instid1(VALU_DEP_4)
	v_add_co_u32 v2, vcc_lo, v22, v6
	v_add_co_ci_u32_e32 v6, vcc_lo, 0, v7, vcc_lo
	s_delay_alu instid0(VALU_DEP_2) | instskip(NEXT) | instid1(VALU_DEP_2)
	v_add_co_u32 v2, vcc_lo, v2, v8
	v_add_co_ci_u32_e32 v2, vcc_lo, v6, v9, vcc_lo
	v_add_co_ci_u32_e32 v6, vcc_lo, 0, v11, vcc_lo
	s_delay_alu instid0(VALU_DEP_2) | instskip(NEXT) | instid1(VALU_DEP_2)
	v_add_co_u32 v2, vcc_lo, v2, v10
	v_add_co_ci_u32_e32 v8, vcc_lo, 0, v6, vcc_lo
	s_delay_alu instid0(VALU_DEP_2) | instskip(SKIP_1) | instid1(VALU_DEP_3)
	v_mul_lo_u32 v9, s13, v2
	v_mad_u64_u32 v[6:7], null, s12, v2, 0
	v_mul_lo_u32 v8, s12, v8
	s_delay_alu instid0(VALU_DEP_2) | instskip(NEXT) | instid1(VALU_DEP_2)
	v_sub_co_u32 v6, vcc_lo, v12, v6
	v_add3_u32 v7, v7, v8, v9
	v_add_co_u32 v9, s2, v2, 2
	s_delay_alu instid0(VALU_DEP_2) | instskip(NEXT) | instid1(VALU_DEP_1)
	v_sub_nc_u32_e32 v8, v21, v7
	v_subrev_co_ci_u32_e64 v8, s2, s13, v8, vcc_lo
	v_sub_co_u32 v10, s2, v6, s12
	v_sub_co_ci_u32_e32 v7, vcc_lo, v21, v7, vcc_lo
	s_delay_alu instid0(VALU_DEP_3) | instskip(NEXT) | instid1(VALU_DEP_3)
	v_subrev_co_ci_u32_e64 v8, s2, 0, v8, s2
	v_cmp_le_u32_e32 vcc_lo, s12, v10
	v_cndmask_b32_e64 v10, 0, -1, vcc_lo
	s_delay_alu instid0(VALU_DEP_3)
	v_cmp_le_u32_e32 vcc_lo, s13, v8
	v_cndmask_b32_e64 v11, 0, -1, vcc_lo
	v_cmp_le_u32_e32 vcc_lo, s12, v6
	v_cndmask_b32_e64 v6, 0, -1, vcc_lo
	v_cmp_le_u32_e32 vcc_lo, s13, v7
	v_cndmask_b32_e64 v12, 0, -1, vcc_lo
	v_cmp_eq_u32_e32 vcc_lo, s13, v8
	v_cndmask_b32_e32 v8, v11, v10, vcc_lo
	v_add_co_u32 v10, vcc_lo, v2, 1
	v_cmp_eq_u32_e32 vcc_lo, s13, v7
	v_cndmask_b32_e32 v6, v12, v6, vcc_lo
	s_delay_alu instid0(VALU_DEP_4) | instskip(NEXT) | instid1(VALU_DEP_4)
	v_cmp_ne_u32_e32 vcc_lo, 0, v8
	v_cndmask_b32_e32 v7, v10, v9, vcc_lo
	s_delay_alu instid0(VALU_DEP_3) | instskip(SKIP_1) | instid1(VALU_DEP_3)
	v_cmp_ne_u32_e32 vcc_lo, 0, v6
	v_xor_b32_e32 v6, s4, v20
	v_cndmask_b32_e32 v2, v2, v7, vcc_lo
	s_delay_alu instid0(VALU_DEP_1) | instskip(NEXT) | instid1(VALU_DEP_1)
	v_xor_b32_e32 v2, v2, v6
	v_sub_co_u32 v8, vcc_lo, v2, v6
                                        ; implicit-def: $vgpr6_vgpr7
	s_and_not1_saveexec_b32 s2, s3
	s_cbranch_execz .LBB7_22
.LBB7_24:                               ;   in Loop: Header=BB7_12 Depth=1
	v_mul_hi_u32 v2, v6, v18
	s_delay_alu instid0(VALU_DEP_1) | instskip(NEXT) | instid1(VALU_DEP_1)
	v_mul_lo_u32 v7, v2, s17
	v_sub_nc_u32_e32 v6, v6, v7
	s_delay_alu instid0(VALU_DEP_1) | instskip(SKIP_1) | instid1(VALU_DEP_2)
	v_subrev_nc_u32_e32 v8, s17, v6
	v_cmp_le_u32_e32 vcc_lo, s17, v6
	v_dual_cndmask_b32 v6, v6, v8 :: v_dual_add_nc_u32 v7, 1, v2
	s_delay_alu instid0(VALU_DEP_1) | instskip(NEXT) | instid1(VALU_DEP_2)
	v_cndmask_b32_e32 v2, v2, v7, vcc_lo
	v_cmp_le_u32_e32 vcc_lo, s17, v6
	s_delay_alu instid0(VALU_DEP_2) | instskip(NEXT) | instid1(VALU_DEP_1)
	v_add_nc_u32_e32 v7, 1, v2
	v_cndmask_b32_e32 v8, v2, v7, vcc_lo
	s_or_b32 exec_lo, exec_lo, s2
	s_and_saveexec_b32 s27, s0
	s_cbranch_execz .LBB7_11
.LBB7_25:                               ;   in Loop: Header=BB7_12 Depth=1
	v_mad_u64_u32 v[6:7], null, v4, s22, v[5:6]
	v_mul_lo_u32 v4, v1, s9
	s_mov_b32 s28, 0
	s_delay_alu instid0(VALU_DEP_2) | instskip(SKIP_1) | instid1(VALU_DEP_3)
	v_sub_nc_u32_e32 v2, v8, v6
	v_mul_lo_u32 v6, v6, s6
	v_ashrrev_i32_e32 v5, 31, v4
	s_delay_alu instid0(VALU_DEP_3) | instskip(NEXT) | instid1(VALU_DEP_2)
	v_add_nc_u32_e32 v19, 1, v2
	v_lshlrev_b64 v[4:5], 1, v[4:5]
	s_delay_alu instid0(VALU_DEP_4) | instskip(NEXT) | instid1(VALU_DEP_2)
	v_ashrrev_i32_e32 v7, 31, v6
	v_add_co_u32 v20, vcc_lo, s14, v4
	v_mov_b32_e32 v4, v0
	v_cvt_f32_i32_e32 v2, v19
	s_delay_alu instid0(VALU_DEP_4) | instskip(SKIP_2) | instid1(VALU_DEP_4)
	v_lshlrev_b64 v[6:7], 1, v[6:7]
	v_add_co_ci_u32_e32 v21, vcc_lo, s15, v5, vcc_lo
	v_cmp_lt_i32_e64 s2, 0, v19
	v_bfe_u32 v8, v2, 16, 1
	s_delay_alu instid0(VALU_DEP_4) | instskip(SKIP_1) | instid1(VALU_DEP_3)
	v_add_co_u32 v22, vcc_lo, v14, v6
	v_add_co_ci_u32_e32 v23, vcc_lo, v15, v7, vcc_lo
	v_add3_u32 v2, v2, v8, 0x7fff
	s_delay_alu instid0(VALU_DEP_1)
	v_and_b32_e32 v24, 0xffff0000, v2
	s_branch .LBB7_27
.LBB7_26:                               ;   in Loop: Header=BB7_27 Depth=2
	v_add_nc_u32_e32 v4, s23, v4
	s_delay_alu instid0(VALU_DEP_1) | instskip(SKIP_1) | instid1(SALU_CYCLE_1)
	v_cmp_le_i32_e32 vcc_lo, s9, v4
	s_or_b32 s28, vcc_lo, s28
	s_and_not1_b32 exec_lo, exec_lo, s28
	s_cbranch_execz .LBB7_11
.LBB7_27:                               ;   Parent Loop BB7_12 Depth=1
                                        ; =>  This Loop Header: Depth=2
                                        ;       Child Loop BB7_42 Depth 3
                                        ;         Child Loop BB7_45 Depth 4
                                        ;           Child Loop BB7_48 Depth 5
                                        ;             Child Loop BB7_50 Depth 6
	v_or_b32_e64 v6, 0, s18
	v_mov_b32_e32 v5, v3
	s_delay_alu instid0(VALU_DEP_1) | instskip(SKIP_1) | instid1(SALU_CYCLE_1)
	v_cmp_ne_u64_e32 vcc_lo, 0, v[5:6]
                                        ; implicit-def: $vgpr6_vgpr7
	s_and_saveexec_b32 s3, vcc_lo
	s_xor_b32 s29, exec_lo, s3
	s_cbranch_execz .LBB7_29
; %bb.28:                               ;   in Loop: Header=BB7_27 Depth=2
	s_add_u32 s12, s16, s18
	s_mov_b32 s4, s18
	s_mov_b32 s5, s18
	s_addc_u32 s13, s18, s18
	s_delay_alu instid0(SALU_CYCLE_1) | instskip(NEXT) | instid1(SALU_CYCLE_1)
	s_xor_b64 s[12:13], s[12:13], s[4:5]
	v_cvt_f32_u32_e32 v2, s12
	v_cvt_f32_u32_e32 v6, s13
	s_sub_u32 s3, 0, s12
	s_subb_u32 s30, 0, s13
	s_delay_alu instid0(VALU_DEP_1) | instskip(NEXT) | instid1(VALU_DEP_1)
	v_fmac_f32_e32 v2, 0x4f800000, v6
	v_rcp_f32_e32 v2, v2
	s_waitcnt_depctr 0xfff
	v_mul_f32_e32 v2, 0x5f7ffffc, v2
	s_delay_alu instid0(VALU_DEP_1) | instskip(NEXT) | instid1(VALU_DEP_1)
	v_mul_f32_e32 v6, 0x2f800000, v2
	v_trunc_f32_e32 v6, v6
	s_delay_alu instid0(VALU_DEP_1) | instskip(SKIP_1) | instid1(VALU_DEP_2)
	v_fmac_f32_e32 v2, 0xcf800000, v6
	v_cvt_u32_f32_e32 v6, v6
	v_cvt_u32_f32_e32 v2, v2
	s_delay_alu instid0(VALU_DEP_2) | instskip(NEXT) | instid1(VALU_DEP_2)
	v_mul_lo_u32 v7, s3, v6
	v_mul_hi_u32 v8, s3, v2
	v_mul_lo_u32 v9, s30, v2
	s_delay_alu instid0(VALU_DEP_2) | instskip(SKIP_1) | instid1(VALU_DEP_2)
	v_add_nc_u32_e32 v7, v8, v7
	v_mul_lo_u32 v8, s3, v2
	v_add_nc_u32_e32 v7, v7, v9
	s_delay_alu instid0(VALU_DEP_2) | instskip(NEXT) | instid1(VALU_DEP_2)
	v_mul_hi_u32 v9, v2, v8
	v_mul_lo_u32 v10, v2, v7
	v_mul_hi_u32 v11, v2, v7
	v_mul_hi_u32 v12, v6, v8
	v_mul_lo_u32 v8, v6, v8
	v_mul_hi_u32 v25, v6, v7
	v_mul_lo_u32 v7, v6, v7
	v_add_co_u32 v9, vcc_lo, v9, v10
	v_add_co_ci_u32_e32 v10, vcc_lo, 0, v11, vcc_lo
	s_delay_alu instid0(VALU_DEP_2) | instskip(NEXT) | instid1(VALU_DEP_2)
	v_add_co_u32 v8, vcc_lo, v9, v8
	v_add_co_ci_u32_e32 v8, vcc_lo, v10, v12, vcc_lo
	v_add_co_ci_u32_e32 v9, vcc_lo, 0, v25, vcc_lo
	v_ashrrev_i32_e64 v12, 31, 0
	s_delay_alu instid0(VALU_DEP_3) | instskip(NEXT) | instid1(VALU_DEP_3)
	v_add_co_u32 v7, vcc_lo, v8, v7
	v_add_co_ci_u32_e32 v8, vcc_lo, 0, v9, vcc_lo
	s_delay_alu instid0(VALU_DEP_2) | instskip(NEXT) | instid1(VALU_DEP_2)
	v_add_co_u32 v2, vcc_lo, v2, v7
	v_add_co_ci_u32_e32 v6, vcc_lo, v6, v8, vcc_lo
	s_delay_alu instid0(VALU_DEP_2) | instskip(SKIP_1) | instid1(VALU_DEP_3)
	v_mul_hi_u32 v7, s3, v2
	v_mul_lo_u32 v9, s30, v2
	v_mul_lo_u32 v8, s3, v6
	s_delay_alu instid0(VALU_DEP_1) | instskip(SKIP_1) | instid1(VALU_DEP_2)
	v_add_nc_u32_e32 v7, v7, v8
	v_mul_lo_u32 v8, s3, v2
	v_add_nc_u32_e32 v7, v7, v9
	s_delay_alu instid0(VALU_DEP_2) | instskip(NEXT) | instid1(VALU_DEP_2)
	v_mul_hi_u32 v9, v2, v8
	v_mul_lo_u32 v10, v2, v7
	v_mul_hi_u32 v11, v2, v7
	v_mul_hi_u32 v25, v6, v8
	v_mul_lo_u32 v8, v6, v8
	v_mul_hi_u32 v26, v6, v7
	v_mul_lo_u32 v7, v6, v7
	v_add_co_u32 v9, vcc_lo, v9, v10
	v_add_co_ci_u32_e32 v10, vcc_lo, 0, v11, vcc_lo
	s_delay_alu instid0(VALU_DEP_2) | instskip(NEXT) | instid1(VALU_DEP_2)
	v_add_co_u32 v8, vcc_lo, v9, v8
	v_add_co_ci_u32_e32 v8, vcc_lo, v10, v25, vcc_lo
	v_add_co_ci_u32_e32 v9, vcc_lo, 0, v26, vcc_lo
	v_add_co_u32 v10, vcc_lo, v4, v12
	v_add_co_ci_u32_e32 v11, vcc_lo, 0, v12, vcc_lo
	s_delay_alu instid0(VALU_DEP_4) | instskip(NEXT) | instid1(VALU_DEP_4)
	v_add_co_u32 v7, vcc_lo, v8, v7
	v_add_co_ci_u32_e32 v8, vcc_lo, 0, v9, vcc_lo
	s_delay_alu instid0(VALU_DEP_4) | instskip(NEXT) | instid1(VALU_DEP_3)
	v_xor_b32_e32 v25, v10, v12
	v_add_co_u32 v2, vcc_lo, v2, v7
	s_delay_alu instid0(VALU_DEP_3) | instskip(SKIP_1) | instid1(VALU_DEP_3)
	v_add_co_ci_u32_e32 v26, vcc_lo, v6, v8, vcc_lo
	v_xor_b32_e32 v27, v11, v12
	v_mul_hi_u32 v28, v25, v2
	s_delay_alu instid0(VALU_DEP_3) | instskip(NEXT) | instid1(VALU_DEP_3)
	v_mad_u64_u32 v[6:7], null, v25, v26, 0
	v_mad_u64_u32 v[8:9], null, v27, v2, 0
	;; [unrolled: 1-line block ×3, first 2 shown]
	s_delay_alu instid0(VALU_DEP_3) | instskip(NEXT) | instid1(VALU_DEP_4)
	v_add_co_u32 v2, vcc_lo, v28, v6
	v_add_co_ci_u32_e32 v6, vcc_lo, 0, v7, vcc_lo
	s_delay_alu instid0(VALU_DEP_2) | instskip(NEXT) | instid1(VALU_DEP_2)
	v_add_co_u32 v2, vcc_lo, v2, v8
	v_add_co_ci_u32_e32 v2, vcc_lo, v6, v9, vcc_lo
	v_add_co_ci_u32_e32 v6, vcc_lo, 0, v11, vcc_lo
	s_delay_alu instid0(VALU_DEP_2) | instskip(NEXT) | instid1(VALU_DEP_2)
	v_add_co_u32 v2, vcc_lo, v2, v10
	v_add_co_ci_u32_e32 v8, vcc_lo, 0, v6, vcc_lo
	s_delay_alu instid0(VALU_DEP_2) | instskip(SKIP_1) | instid1(VALU_DEP_3)
	v_mul_lo_u32 v9, s13, v2
	v_mad_u64_u32 v[6:7], null, s12, v2, 0
	v_mul_lo_u32 v10, s12, v8
	s_delay_alu instid0(VALU_DEP_2) | instskip(NEXT) | instid1(VALU_DEP_2)
	v_sub_co_u32 v6, vcc_lo, v25, v6
	v_add3_u32 v7, v7, v10, v9
	s_delay_alu instid0(VALU_DEP_1) | instskip(NEXT) | instid1(VALU_DEP_1)
	v_sub_nc_u32_e32 v9, v27, v7
	v_subrev_co_ci_u32_e64 v9, s3, s13, v9, vcc_lo
	v_add_co_u32 v10, s3, v2, 2
	s_delay_alu instid0(VALU_DEP_1) | instskip(SKIP_3) | instid1(VALU_DEP_3)
	v_add_co_ci_u32_e64 v11, s3, 0, v8, s3
	v_sub_co_u32 v25, s3, v6, s12
	v_sub_co_ci_u32_e32 v7, vcc_lo, v27, v7, vcc_lo
	v_subrev_co_ci_u32_e64 v9, s3, 0, v9, s3
	v_cmp_le_u32_e32 vcc_lo, s12, v25
	s_delay_alu instid0(VALU_DEP_3) | instskip(SKIP_1) | instid1(VALU_DEP_4)
	v_cmp_eq_u32_e64 s3, s13, v7
	v_cndmask_b32_e64 v25, 0, -1, vcc_lo
	v_cmp_le_u32_e32 vcc_lo, s13, v9
	v_cndmask_b32_e64 v26, 0, -1, vcc_lo
	v_cmp_le_u32_e32 vcc_lo, s12, v6
	;; [unrolled: 2-line block ×3, first 2 shown]
	v_cndmask_b32_e64 v27, 0, -1, vcc_lo
	v_cmp_eq_u32_e32 vcc_lo, s13, v9
	s_delay_alu instid0(VALU_DEP_2) | instskip(SKIP_3) | instid1(VALU_DEP_3)
	v_cndmask_b32_e64 v6, v27, v6, s3
	v_cndmask_b32_e32 v9, v26, v25, vcc_lo
	v_add_co_u32 v25, vcc_lo, v2, 1
	v_add_co_ci_u32_e32 v26, vcc_lo, 0, v8, vcc_lo
	v_cmp_ne_u32_e32 vcc_lo, 0, v9
	s_delay_alu instid0(VALU_DEP_2) | instskip(NEXT) | instid1(VALU_DEP_4)
	v_cndmask_b32_e32 v7, v26, v11, vcc_lo
	v_cndmask_b32_e32 v9, v25, v10, vcc_lo
	v_cmp_ne_u32_e32 vcc_lo, 0, v6
	v_xor_b32_e32 v6, s4, v12
	s_delay_alu instid0(VALU_DEP_3) | instskip(SKIP_1) | instid1(VALU_DEP_2)
	v_dual_cndmask_b32 v7, v8, v7 :: v_dual_cndmask_b32 v2, v2, v9
	v_xor_b32_e32 v8, s5, v12
	v_xor_b32_e32 v2, v2, v6
	s_delay_alu instid0(VALU_DEP_2) | instskip(NEXT) | instid1(VALU_DEP_2)
	v_xor_b32_e32 v7, v7, v8
	v_sub_co_u32 v6, vcc_lo, v2, v6
	s_delay_alu instid0(VALU_DEP_2)
	v_sub_co_ci_u32_e32 v7, vcc_lo, v7, v8, vcc_lo
.LBB7_29:                               ;   in Loop: Header=BB7_27 Depth=2
	s_or_saveexec_b32 s3, s29
	v_cvt_f32_u32_e32 v25, s16
	s_xor_b32 exec_lo, exec_lo, s3
	s_cbranch_execz .LBB7_31
; %bb.30:                               ;   in Loop: Header=BB7_27 Depth=2
	s_delay_alu instid0(VALU_DEP_1) | instskip(SKIP_3) | instid1(VALU_DEP_1)
	v_rcp_iflag_f32_e32 v2, v25
	s_sub_i32 s4, 0, s16
	s_waitcnt_depctr 0xfff
	v_mul_f32_e32 v2, 0x4f7ffffe, v2
	v_cvt_u32_f32_e32 v2, v2
	s_delay_alu instid0(VALU_DEP_1) | instskip(NEXT) | instid1(VALU_DEP_1)
	v_mul_lo_u32 v6, s4, v2
	v_mul_hi_u32 v6, v2, v6
	s_delay_alu instid0(VALU_DEP_1) | instskip(NEXT) | instid1(VALU_DEP_1)
	v_add_nc_u32_e32 v2, v2, v6
	v_mul_hi_u32 v2, v4, v2
	s_delay_alu instid0(VALU_DEP_1) | instskip(NEXT) | instid1(VALU_DEP_1)
	v_mul_lo_u32 v6, v2, s16
	v_sub_nc_u32_e32 v6, v4, v6
	s_delay_alu instid0(VALU_DEP_1) | instskip(SKIP_1) | instid1(VALU_DEP_2)
	v_subrev_nc_u32_e32 v8, s16, v6
	v_cmp_le_u32_e32 vcc_lo, s16, v6
	v_dual_cndmask_b32 v6, v6, v8 :: v_dual_add_nc_u32 v7, 1, v2
	s_delay_alu instid0(VALU_DEP_1) | instskip(NEXT) | instid1(VALU_DEP_2)
	v_cndmask_b32_e32 v2, v2, v7, vcc_lo
	v_cmp_le_u32_e32 vcc_lo, s16, v6
	s_delay_alu instid0(VALU_DEP_2) | instskip(NEXT) | instid1(VALU_DEP_1)
	v_add_nc_u32_e32 v7, 1, v2
	v_cndmask_b32_e32 v2, v2, v7, vcc_lo
	s_delay_alu instid0(VALU_DEP_1)
	v_dual_mov_b32 v7, v3 :: v_dual_mov_b32 v6, v2
.LBB7_31:                               ;   in Loop: Header=BB7_27 Depth=2
	s_or_b32 exec_lo, exec_lo, s3
	s_delay_alu instid0(VALU_DEP_1) | instskip(NEXT) | instid1(VALU_DEP_2)
	v_mul_lo_u32 v2, v7, s16
	v_mul_lo_u32 v9, v6, s18
	v_mad_u64_u32 v[7:8], null, v6, s16, 0
	s_delay_alu instid0(VALU_DEP_1) | instskip(NEXT) | instid1(VALU_DEP_2)
	v_add3_u32 v2, v8, v9, v2
	v_sub_co_u32 v7, vcc_lo, v4, v7
	s_delay_alu instid0(VALU_DEP_2) | instskip(NEXT) | instid1(VALU_DEP_2)
	v_sub_co_ci_u32_e32 v2, vcc_lo, 0, v2, vcc_lo
	v_mul_lo_u32 v8, v7, s25
	v_mad_u64_u32 v[9:10], null, v7, s6, 0
	s_delay_alu instid0(VALU_DEP_3) | instskip(SKIP_1) | instid1(VALU_DEP_2)
	v_mul_lo_u32 v2, v2, s6
	v_mov_b32_e32 v7, v3
	v_add3_u32 v10, v10, v8, v2
	s_delay_alu instid0(VALU_DEP_1) | instskip(NEXT) | instid1(VALU_DEP_1)
	v_or_b32_e32 v8, s18, v10
	v_cmp_ne_u64_e32 vcc_lo, 0, v[7:8]
                                        ; implicit-def: $vgpr7_vgpr8
	s_and_saveexec_b32 s3, vcc_lo
	s_delay_alu instid0(SALU_CYCLE_1)
	s_xor_b32 s29, exec_lo, s3
	s_cbranch_execz .LBB7_33
; %bb.32:                               ;   in Loop: Header=BB7_27 Depth=2
	s_add_u32 s12, s16, s18
	s_mov_b32 s4, s18
	s_mov_b32 s5, s18
	s_addc_u32 s13, s18, s18
	s_delay_alu instid0(SALU_CYCLE_1) | instskip(NEXT) | instid1(SALU_CYCLE_1)
	s_xor_b64 s[12:13], s[12:13], s[4:5]
	v_cvt_f32_u32_e32 v2, s12
	v_cvt_f32_u32_e32 v7, s13
	s_sub_u32 s3, 0, s12
	s_subb_u32 s30, 0, s13
	s_delay_alu instid0(VALU_DEP_1) | instskip(NEXT) | instid1(VALU_DEP_1)
	v_fmac_f32_e32 v2, 0x4f800000, v7
	v_rcp_f32_e32 v2, v2
	s_waitcnt_depctr 0xfff
	v_mul_f32_e32 v2, 0x5f7ffffc, v2
	s_delay_alu instid0(VALU_DEP_1) | instskip(NEXT) | instid1(VALU_DEP_1)
	v_mul_f32_e32 v7, 0x2f800000, v2
	v_trunc_f32_e32 v7, v7
	s_delay_alu instid0(VALU_DEP_1) | instskip(SKIP_1) | instid1(VALU_DEP_2)
	v_fmac_f32_e32 v2, 0xcf800000, v7
	v_cvt_u32_f32_e32 v7, v7
	v_cvt_u32_f32_e32 v2, v2
	s_delay_alu instid0(VALU_DEP_2) | instskip(NEXT) | instid1(VALU_DEP_2)
	v_mul_lo_u32 v8, s3, v7
	v_mul_hi_u32 v11, s3, v2
	v_mul_lo_u32 v12, s30, v2
	s_delay_alu instid0(VALU_DEP_2) | instskip(SKIP_1) | instid1(VALU_DEP_2)
	v_add_nc_u32_e32 v8, v11, v8
	v_mul_lo_u32 v11, s3, v2
	v_add_nc_u32_e32 v8, v8, v12
	s_delay_alu instid0(VALU_DEP_2) | instskip(NEXT) | instid1(VALU_DEP_2)
	v_mul_hi_u32 v12, v2, v11
	v_mul_lo_u32 v26, v2, v8
	v_mul_hi_u32 v27, v2, v8
	v_mul_hi_u32 v28, v7, v11
	v_mul_lo_u32 v11, v7, v11
	v_mul_hi_u32 v29, v7, v8
	v_mul_lo_u32 v8, v7, v8
	v_add_co_u32 v12, vcc_lo, v12, v26
	v_add_co_ci_u32_e32 v26, vcc_lo, 0, v27, vcc_lo
	s_delay_alu instid0(VALU_DEP_2) | instskip(NEXT) | instid1(VALU_DEP_2)
	v_add_co_u32 v11, vcc_lo, v12, v11
	v_add_co_ci_u32_e32 v11, vcc_lo, v26, v28, vcc_lo
	v_add_co_ci_u32_e32 v12, vcc_lo, 0, v29, vcc_lo
	v_ashrrev_i32_e32 v28, 31, v10
	s_delay_alu instid0(VALU_DEP_3) | instskip(NEXT) | instid1(VALU_DEP_3)
	v_add_co_u32 v8, vcc_lo, v11, v8
	v_add_co_ci_u32_e32 v11, vcc_lo, 0, v12, vcc_lo
	s_delay_alu instid0(VALU_DEP_2) | instskip(NEXT) | instid1(VALU_DEP_2)
	v_add_co_u32 v2, vcc_lo, v2, v8
	v_add_co_ci_u32_e32 v7, vcc_lo, v7, v11, vcc_lo
	s_delay_alu instid0(VALU_DEP_2) | instskip(SKIP_1) | instid1(VALU_DEP_3)
	v_mul_hi_u32 v8, s3, v2
	v_mul_lo_u32 v12, s30, v2
	v_mul_lo_u32 v11, s3, v7
	s_delay_alu instid0(VALU_DEP_1) | instskip(SKIP_1) | instid1(VALU_DEP_2)
	v_add_nc_u32_e32 v8, v8, v11
	v_mul_lo_u32 v11, s3, v2
	v_add_nc_u32_e32 v8, v8, v12
	s_delay_alu instid0(VALU_DEP_2) | instskip(NEXT) | instid1(VALU_DEP_2)
	v_mul_hi_u32 v12, v2, v11
	v_mul_lo_u32 v26, v2, v8
	v_mul_hi_u32 v27, v2, v8
	v_mul_hi_u32 v29, v7, v11
	v_mul_lo_u32 v11, v7, v11
	v_mul_hi_u32 v30, v7, v8
	v_mul_lo_u32 v8, v7, v8
	v_add_co_u32 v12, vcc_lo, v12, v26
	v_add_co_ci_u32_e32 v26, vcc_lo, 0, v27, vcc_lo
	s_delay_alu instid0(VALU_DEP_2) | instskip(NEXT) | instid1(VALU_DEP_2)
	v_add_co_u32 v11, vcc_lo, v12, v11
	v_add_co_ci_u32_e32 v11, vcc_lo, v26, v29, vcc_lo
	v_add_co_ci_u32_e32 v12, vcc_lo, 0, v30, vcc_lo
	v_add_co_u32 v9, vcc_lo, v9, v28
	v_add_co_ci_u32_e32 v10, vcc_lo, v10, v28, vcc_lo
	s_delay_alu instid0(VALU_DEP_4) | instskip(NEXT) | instid1(VALU_DEP_4)
	v_add_co_u32 v8, vcc_lo, v11, v8
	v_add_co_ci_u32_e32 v11, vcc_lo, 0, v12, vcc_lo
	s_delay_alu instid0(VALU_DEP_4) | instskip(NEXT) | instid1(VALU_DEP_3)
	v_xor_b32_e32 v26, v9, v28
	v_add_co_u32 v2, vcc_lo, v2, v8
	s_delay_alu instid0(VALU_DEP_3) | instskip(SKIP_1) | instid1(VALU_DEP_3)
	v_add_co_ci_u32_e32 v27, vcc_lo, v7, v11, vcc_lo
	v_xor_b32_e32 v29, v10, v28
	v_mul_hi_u32 v30, v26, v2
	s_delay_alu instid0(VALU_DEP_3) | instskip(NEXT) | instid1(VALU_DEP_3)
	v_mad_u64_u32 v[7:8], null, v26, v27, 0
	v_mad_u64_u32 v[9:10], null, v29, v2, 0
	;; [unrolled: 1-line block ×3, first 2 shown]
	s_delay_alu instid0(VALU_DEP_3) | instskip(NEXT) | instid1(VALU_DEP_4)
	v_add_co_u32 v2, vcc_lo, v30, v7
	v_add_co_ci_u32_e32 v7, vcc_lo, 0, v8, vcc_lo
	s_delay_alu instid0(VALU_DEP_2) | instskip(NEXT) | instid1(VALU_DEP_2)
	v_add_co_u32 v2, vcc_lo, v2, v9
	v_add_co_ci_u32_e32 v2, vcc_lo, v7, v10, vcc_lo
	v_add_co_ci_u32_e32 v7, vcc_lo, 0, v12, vcc_lo
	s_delay_alu instid0(VALU_DEP_2) | instskip(NEXT) | instid1(VALU_DEP_2)
	v_add_co_u32 v2, vcc_lo, v2, v11
	v_add_co_ci_u32_e32 v9, vcc_lo, 0, v7, vcc_lo
	s_delay_alu instid0(VALU_DEP_2) | instskip(SKIP_1) | instid1(VALU_DEP_3)
	v_mul_lo_u32 v10, s13, v2
	v_mad_u64_u32 v[7:8], null, s12, v2, 0
	v_mul_lo_u32 v11, s12, v9
	s_delay_alu instid0(VALU_DEP_2) | instskip(NEXT) | instid1(VALU_DEP_2)
	v_sub_co_u32 v7, vcc_lo, v26, v7
	v_add3_u32 v8, v8, v11, v10
	s_delay_alu instid0(VALU_DEP_1) | instskip(NEXT) | instid1(VALU_DEP_1)
	v_sub_nc_u32_e32 v10, v29, v8
	v_subrev_co_ci_u32_e64 v10, s3, s13, v10, vcc_lo
	v_add_co_u32 v11, s3, v2, 2
	s_delay_alu instid0(VALU_DEP_1) | instskip(SKIP_3) | instid1(VALU_DEP_3)
	v_add_co_ci_u32_e64 v12, s3, 0, v9, s3
	v_sub_co_u32 v26, s3, v7, s12
	v_sub_co_ci_u32_e32 v8, vcc_lo, v29, v8, vcc_lo
	v_subrev_co_ci_u32_e64 v10, s3, 0, v10, s3
	v_cmp_le_u32_e32 vcc_lo, s12, v26
	s_delay_alu instid0(VALU_DEP_3) | instskip(SKIP_1) | instid1(VALU_DEP_4)
	v_cmp_eq_u32_e64 s3, s13, v8
	v_cndmask_b32_e64 v26, 0, -1, vcc_lo
	v_cmp_le_u32_e32 vcc_lo, s13, v10
	v_cndmask_b32_e64 v27, 0, -1, vcc_lo
	v_cmp_le_u32_e32 vcc_lo, s12, v7
	;; [unrolled: 2-line block ×3, first 2 shown]
	v_cndmask_b32_e64 v29, 0, -1, vcc_lo
	v_cmp_eq_u32_e32 vcc_lo, s13, v10
	s_delay_alu instid0(VALU_DEP_2) | instskip(SKIP_3) | instid1(VALU_DEP_3)
	v_cndmask_b32_e64 v7, v29, v7, s3
	v_cndmask_b32_e32 v10, v27, v26, vcc_lo
	v_add_co_u32 v26, vcc_lo, v2, 1
	v_add_co_ci_u32_e32 v27, vcc_lo, 0, v9, vcc_lo
	v_cmp_ne_u32_e32 vcc_lo, 0, v10
	s_delay_alu instid0(VALU_DEP_2) | instskip(NEXT) | instid1(VALU_DEP_4)
	v_cndmask_b32_e32 v8, v27, v12, vcc_lo
	v_cndmask_b32_e32 v10, v26, v11, vcc_lo
	v_cmp_ne_u32_e32 vcc_lo, 0, v7
	v_xor_b32_e32 v7, s4, v28
	s_delay_alu instid0(VALU_DEP_3) | instskip(SKIP_2) | instid1(VALU_DEP_3)
	v_cndmask_b32_e32 v2, v2, v10, vcc_lo
	v_cndmask_b32_e32 v8, v9, v8, vcc_lo
	v_xor_b32_e32 v9, s5, v28
	v_xor_b32_e32 v2, v2, v7
	s_delay_alu instid0(VALU_DEP_2) | instskip(NEXT) | instid1(VALU_DEP_2)
	v_xor_b32_e32 v8, v8, v9
	v_sub_co_u32 v7, vcc_lo, v2, v7
	s_delay_alu instid0(VALU_DEP_2)
	v_sub_co_ci_u32_e32 v8, vcc_lo, v8, v9, vcc_lo
                                        ; implicit-def: $vgpr9_vgpr10
.LBB7_33:                               ;   in Loop: Header=BB7_27 Depth=2
	s_and_not1_saveexec_b32 s3, s29
	s_cbranch_execz .LBB7_35
; %bb.34:                               ;   in Loop: Header=BB7_27 Depth=2
	v_rcp_iflag_f32_e32 v2, v25
	s_sub_i32 s4, 0, s16
	s_waitcnt_depctr 0xfff
	v_mul_f32_e32 v2, 0x4f7ffffe, v2
	s_delay_alu instid0(VALU_DEP_1) | instskip(NEXT) | instid1(VALU_DEP_1)
	v_cvt_u32_f32_e32 v2, v2
	v_mul_lo_u32 v7, s4, v2
	s_delay_alu instid0(VALU_DEP_1) | instskip(NEXT) | instid1(VALU_DEP_1)
	v_mul_hi_u32 v7, v2, v7
	v_add_nc_u32_e32 v2, v2, v7
	s_delay_alu instid0(VALU_DEP_1) | instskip(NEXT) | instid1(VALU_DEP_1)
	v_mul_hi_u32 v2, v9, v2
	v_mul_lo_u32 v7, v2, s16
	v_add_nc_u32_e32 v8, 1, v2
	s_delay_alu instid0(VALU_DEP_2) | instskip(NEXT) | instid1(VALU_DEP_1)
	v_sub_nc_u32_e32 v7, v9, v7
	v_subrev_nc_u32_e32 v9, s16, v7
	v_cmp_le_u32_e32 vcc_lo, s16, v7
	s_delay_alu instid0(VALU_DEP_2) | instskip(NEXT) | instid1(VALU_DEP_1)
	v_dual_cndmask_b32 v7, v7, v9 :: v_dual_cndmask_b32 v2, v2, v8
	v_cmp_le_u32_e32 vcc_lo, s16, v7
	s_delay_alu instid0(VALU_DEP_2) | instskip(NEXT) | instid1(VALU_DEP_1)
	v_add_nc_u32_e32 v8, 1, v2
	v_cndmask_b32_e32 v2, v2, v8, vcc_lo
	s_delay_alu instid0(VALU_DEP_1)
	v_dual_mov_b32 v8, v3 :: v_dual_mov_b32 v7, v2
.LBB7_35:                               ;   in Loop: Header=BB7_27 Depth=2
	s_or_b32 exec_lo, exec_lo, s3
	v_add_co_u32 v2, s3, v4, 1
	s_delay_alu instid0(VALU_DEP_1) | instskip(NEXT) | instid1(VALU_DEP_2)
	v_add_co_ci_u32_e64 v9, null, 0, 0, s3
	v_mul_lo_u32 v11, v2, s25
	s_delay_alu instid0(VALU_DEP_2) | instskip(SKIP_1) | instid1(VALU_DEP_1)
	v_mul_lo_u32 v12, v9, s6
	v_mad_u64_u32 v[9:10], null, v2, s6, -1
	v_add3_u32 v10, v12, v10, v11
	v_mov_b32_e32 v11, v3
	s_delay_alu instid0(VALU_DEP_2) | instskip(NEXT) | instid1(VALU_DEP_1)
	v_or_b32_e32 v12, s18, v10
	v_cmp_ne_u64_e32 vcc_lo, 0, v[11:12]
                                        ; implicit-def: $vgpr11_vgpr12
	s_and_saveexec_b32 s3, vcc_lo
	s_delay_alu instid0(SALU_CYCLE_1)
	s_xor_b32 s29, exec_lo, s3
	s_cbranch_execnz .LBB7_38
; %bb.36:                               ;   in Loop: Header=BB7_27 Depth=2
	s_and_not1_saveexec_b32 s3, s29
	s_cbranch_execnz .LBB7_39
.LBB7_37:                               ;   in Loop: Header=BB7_27 Depth=2
	s_or_b32 exec_lo, exec_lo, s3
	s_delay_alu instid0(SALU_CYCLE_1)
	s_and_not1_b32 vcc_lo, exec_lo, s1
	s_cbranch_vccnz .LBB7_26
	s_branch .LBB7_40
.LBB7_38:                               ;   in Loop: Header=BB7_27 Depth=2
	s_add_u32 s12, s16, s18
	s_mov_b32 s4, s18
	s_mov_b32 s5, s18
	s_addc_u32 s13, s18, s18
	s_delay_alu instid0(SALU_CYCLE_1) | instskip(NEXT) | instid1(SALU_CYCLE_1)
	s_xor_b64 s[12:13], s[12:13], s[4:5]
	v_cvt_f32_u32_e32 v2, s12
	v_cvt_f32_u32_e32 v11, s13
	s_sub_u32 s3, 0, s12
	s_subb_u32 s5, 0, s13
	s_delay_alu instid0(VALU_DEP_1) | instskip(NEXT) | instid1(VALU_DEP_1)
	v_fmac_f32_e32 v2, 0x4f800000, v11
	v_rcp_f32_e32 v2, v2
	s_waitcnt_depctr 0xfff
	v_mul_f32_e32 v2, 0x5f7ffffc, v2
	s_delay_alu instid0(VALU_DEP_1) | instskip(NEXT) | instid1(VALU_DEP_1)
	v_mul_f32_e32 v11, 0x2f800000, v2
	v_trunc_f32_e32 v11, v11
	s_delay_alu instid0(VALU_DEP_1) | instskip(SKIP_1) | instid1(VALU_DEP_2)
	v_fmac_f32_e32 v2, 0xcf800000, v11
	v_cvt_u32_f32_e32 v11, v11
	v_cvt_u32_f32_e32 v2, v2
	s_delay_alu instid0(VALU_DEP_2) | instskip(NEXT) | instid1(VALU_DEP_2)
	v_mul_lo_u32 v12, s3, v11
	v_mul_hi_u32 v25, s3, v2
	v_mul_lo_u32 v26, s5, v2
	s_delay_alu instid0(VALU_DEP_2) | instskip(SKIP_1) | instid1(VALU_DEP_2)
	v_add_nc_u32_e32 v12, v25, v12
	v_mul_lo_u32 v25, s3, v2
	v_add_nc_u32_e32 v12, v12, v26
	s_delay_alu instid0(VALU_DEP_2) | instskip(NEXT) | instid1(VALU_DEP_2)
	v_mul_hi_u32 v26, v2, v25
	v_mul_lo_u32 v27, v2, v12
	v_mul_hi_u32 v28, v2, v12
	v_mul_hi_u32 v29, v11, v25
	v_mul_lo_u32 v25, v11, v25
	v_mul_hi_u32 v30, v11, v12
	v_mul_lo_u32 v12, v11, v12
	v_add_co_u32 v26, vcc_lo, v26, v27
	v_add_co_ci_u32_e32 v27, vcc_lo, 0, v28, vcc_lo
	s_delay_alu instid0(VALU_DEP_2) | instskip(NEXT) | instid1(VALU_DEP_2)
	v_add_co_u32 v25, vcc_lo, v26, v25
	v_add_co_ci_u32_e32 v25, vcc_lo, v27, v29, vcc_lo
	v_add_co_ci_u32_e32 v26, vcc_lo, 0, v30, vcc_lo
	v_ashrrev_i32_e32 v29, 31, v10
	s_delay_alu instid0(VALU_DEP_3) | instskip(NEXT) | instid1(VALU_DEP_3)
	v_add_co_u32 v12, vcc_lo, v25, v12
	v_add_co_ci_u32_e32 v25, vcc_lo, 0, v26, vcc_lo
	s_delay_alu instid0(VALU_DEP_2) | instskip(NEXT) | instid1(VALU_DEP_2)
	v_add_co_u32 v2, vcc_lo, v2, v12
	v_add_co_ci_u32_e32 v11, vcc_lo, v11, v25, vcc_lo
	s_delay_alu instid0(VALU_DEP_2) | instskip(SKIP_1) | instid1(VALU_DEP_3)
	v_mul_hi_u32 v12, s3, v2
	v_mul_lo_u32 v26, s5, v2
	v_mul_lo_u32 v25, s3, v11
	s_delay_alu instid0(VALU_DEP_1) | instskip(SKIP_1) | instid1(VALU_DEP_2)
	v_add_nc_u32_e32 v12, v12, v25
	v_mul_lo_u32 v25, s3, v2
	v_add_nc_u32_e32 v12, v12, v26
	s_delay_alu instid0(VALU_DEP_2) | instskip(NEXT) | instid1(VALU_DEP_2)
	v_mul_hi_u32 v26, v2, v25
	v_mul_lo_u32 v27, v2, v12
	v_mul_hi_u32 v28, v2, v12
	v_mul_hi_u32 v30, v11, v25
	v_mul_lo_u32 v25, v11, v25
	v_mul_hi_u32 v31, v11, v12
	v_mul_lo_u32 v12, v11, v12
	v_add_co_u32 v26, vcc_lo, v26, v27
	v_add_co_ci_u32_e32 v27, vcc_lo, 0, v28, vcc_lo
	s_delay_alu instid0(VALU_DEP_2) | instskip(NEXT) | instid1(VALU_DEP_2)
	v_add_co_u32 v25, vcc_lo, v26, v25
	v_add_co_ci_u32_e32 v25, vcc_lo, v27, v30, vcc_lo
	v_add_co_ci_u32_e32 v26, vcc_lo, 0, v31, vcc_lo
	v_add_co_u32 v9, vcc_lo, v9, v29
	v_add_co_ci_u32_e32 v10, vcc_lo, v10, v29, vcc_lo
	s_delay_alu instid0(VALU_DEP_4) | instskip(NEXT) | instid1(VALU_DEP_4)
	v_add_co_u32 v12, vcc_lo, v25, v12
	v_add_co_ci_u32_e32 v25, vcc_lo, 0, v26, vcc_lo
	s_delay_alu instid0(VALU_DEP_4) | instskip(NEXT) | instid1(VALU_DEP_3)
	v_xor_b32_e32 v27, v9, v29
	v_add_co_u32 v2, vcc_lo, v2, v12
	s_delay_alu instid0(VALU_DEP_3) | instskip(SKIP_1) | instid1(VALU_DEP_3)
	v_add_co_ci_u32_e32 v28, vcc_lo, v11, v25, vcc_lo
	v_xor_b32_e32 v30, v10, v29
	v_mul_hi_u32 v31, v27, v2
	s_delay_alu instid0(VALU_DEP_3) | instskip(NEXT) | instid1(VALU_DEP_3)
	v_mad_u64_u32 v[9:10], null, v27, v28, 0
	v_mad_u64_u32 v[11:12], null, v30, v2, 0
	v_mad_u64_u32 v[25:26], null, v30, v28, 0
	s_delay_alu instid0(VALU_DEP_3) | instskip(NEXT) | instid1(VALU_DEP_4)
	v_add_co_u32 v2, vcc_lo, v31, v9
	v_add_co_ci_u32_e32 v9, vcc_lo, 0, v10, vcc_lo
	s_delay_alu instid0(VALU_DEP_2) | instskip(NEXT) | instid1(VALU_DEP_2)
	v_add_co_u32 v2, vcc_lo, v2, v11
	v_add_co_ci_u32_e32 v2, vcc_lo, v9, v12, vcc_lo
	v_add_co_ci_u32_e32 v9, vcc_lo, 0, v26, vcc_lo
	s_delay_alu instid0(VALU_DEP_2) | instskip(NEXT) | instid1(VALU_DEP_2)
	v_add_co_u32 v2, vcc_lo, v2, v25
	v_add_co_ci_u32_e32 v11, vcc_lo, 0, v9, vcc_lo
	s_delay_alu instid0(VALU_DEP_2) | instskip(SKIP_1) | instid1(VALU_DEP_3)
	v_mul_lo_u32 v12, s13, v2
	v_mad_u64_u32 v[9:10], null, s12, v2, 0
	v_mul_lo_u32 v11, s12, v11
	s_delay_alu instid0(VALU_DEP_2) | instskip(NEXT) | instid1(VALU_DEP_2)
	v_sub_co_u32 v9, vcc_lo, v27, v9
	v_add3_u32 v10, v10, v11, v12
	v_add_co_u32 v12, s3, v2, 2
	s_delay_alu instid0(VALU_DEP_2) | instskip(NEXT) | instid1(VALU_DEP_1)
	v_sub_nc_u32_e32 v11, v30, v10
	v_subrev_co_ci_u32_e64 v11, s3, s13, v11, vcc_lo
	v_sub_co_u32 v25, s3, v9, s12
	v_sub_co_ci_u32_e32 v10, vcc_lo, v30, v10, vcc_lo
	s_delay_alu instid0(VALU_DEP_3) | instskip(NEXT) | instid1(VALU_DEP_3)
	v_subrev_co_ci_u32_e64 v11, s3, 0, v11, s3
	v_cmp_le_u32_e32 vcc_lo, s12, v25
	v_cndmask_b32_e64 v25, 0, -1, vcc_lo
	s_delay_alu instid0(VALU_DEP_3)
	v_cmp_le_u32_e32 vcc_lo, s13, v11
	v_cndmask_b32_e64 v26, 0, -1, vcc_lo
	v_cmp_le_u32_e32 vcc_lo, s12, v9
	v_cndmask_b32_e64 v9, 0, -1, vcc_lo
	;; [unrolled: 2-line block ×3, first 2 shown]
	v_cmp_eq_u32_e32 vcc_lo, s13, v11
	v_cndmask_b32_e32 v11, v26, v25, vcc_lo
	v_add_co_u32 v25, vcc_lo, v2, 1
	v_cmp_eq_u32_e32 vcc_lo, s13, v10
	v_cndmask_b32_e32 v9, v27, v9, vcc_lo
	s_delay_alu instid0(VALU_DEP_4) | instskip(NEXT) | instid1(VALU_DEP_4)
	v_cmp_ne_u32_e32 vcc_lo, 0, v11
	v_cndmask_b32_e32 v10, v25, v12, vcc_lo
	s_delay_alu instid0(VALU_DEP_3) | instskip(SKIP_1) | instid1(VALU_DEP_3)
	v_cmp_ne_u32_e32 vcc_lo, 0, v9
	v_xor_b32_e32 v9, s4, v29
                                        ; implicit-def: $vgpr25
	v_cndmask_b32_e32 v2, v2, v10, vcc_lo
	s_delay_alu instid0(VALU_DEP_1) | instskip(NEXT) | instid1(VALU_DEP_1)
	v_xor_b32_e32 v2, v2, v9
	v_sub_co_u32 v11, vcc_lo, v2, v9
                                        ; implicit-def: $vgpr9_vgpr10
	s_and_not1_saveexec_b32 s3, s29
	s_cbranch_execz .LBB7_37
.LBB7_39:                               ;   in Loop: Header=BB7_27 Depth=2
	v_rcp_iflag_f32_e32 v2, v25
	s_sub_i32 s4, 0, s16
	s_waitcnt_depctr 0xfff
	v_mul_f32_e32 v2, 0x4f7ffffe, v2
	s_delay_alu instid0(VALU_DEP_1) | instskip(NEXT) | instid1(VALU_DEP_1)
	v_cvt_u32_f32_e32 v2, v2
	v_mul_lo_u32 v10, s4, v2
	s_delay_alu instid0(VALU_DEP_1) | instskip(NEXT) | instid1(VALU_DEP_1)
	v_mul_hi_u32 v10, v2, v10
	v_add_nc_u32_e32 v2, v2, v10
	s_delay_alu instid0(VALU_DEP_1) | instskip(NEXT) | instid1(VALU_DEP_1)
	v_mul_hi_u32 v2, v9, v2
	v_mul_lo_u32 v10, v2, s16
	s_delay_alu instid0(VALU_DEP_1) | instskip(SKIP_1) | instid1(VALU_DEP_2)
	v_sub_nc_u32_e32 v9, v9, v10
	v_add_nc_u32_e32 v10, 1, v2
	v_subrev_nc_u32_e32 v11, s16, v9
	v_cmp_le_u32_e32 vcc_lo, s16, v9
	s_delay_alu instid0(VALU_DEP_2) | instskip(NEXT) | instid1(VALU_DEP_1)
	v_dual_cndmask_b32 v9, v9, v11 :: v_dual_cndmask_b32 v2, v2, v10
	v_cmp_le_u32_e32 vcc_lo, s16, v9
	s_delay_alu instid0(VALU_DEP_2) | instskip(NEXT) | instid1(VALU_DEP_1)
	v_add_nc_u32_e32 v10, 1, v2
	v_cndmask_b32_e32 v11, v2, v10, vcc_lo
	s_or_b32 exec_lo, exec_lo, s3
	s_delay_alu instid0(SALU_CYCLE_1)
	s_and_not1_b32 vcc_lo, exec_lo, s1
	s_cbranch_vccnz .LBB7_26
.LBB7_40:                               ;   in Loop: Header=BB7_27 Depth=2
	v_lshlrev_b64 v[9:10], 1, v[4:5]
	s_mov_b32 s12, 0
	s_delay_alu instid0(VALU_DEP_1) | instskip(NEXT) | instid1(VALU_DEP_2)
	v_add_co_u32 v9, vcc_lo, v20, v9
	v_add_co_ci_u32_e32 v10, vcc_lo, v21, v10, vcc_lo
	global_load_u16 v2, v[9:10], off
	s_waitcnt vmcnt(0)
	v_lshlrev_b32_e32 v2, 16, v2
	s_delay_alu instid0(VALU_DEP_1) | instskip(NEXT) | instid1(VALU_DEP_1)
	v_div_scale_f32 v5, null, v16, v16, v2
	v_rcp_f32_e32 v9, v5
	s_waitcnt_depctr 0xfff
	v_fma_f32 v10, -v5, v9, 1.0
	s_delay_alu instid0(VALU_DEP_1) | instskip(SKIP_1) | instid1(VALU_DEP_1)
	v_fmac_f32_e32 v9, v10, v9
	v_div_scale_f32 v12, vcc_lo, v2, v16, v2
	v_mul_f32_e32 v10, v12, v9
	s_delay_alu instid0(VALU_DEP_1) | instskip(NEXT) | instid1(VALU_DEP_1)
	v_fma_f32 v25, -v5, v10, v12
	v_fmac_f32_e32 v10, v25, v9
	v_mad_u64_u32 v[25:26], null, v6, s6, v[7:8]
	s_delay_alu instid0(VALU_DEP_2) | instskip(NEXT) | instid1(VALU_DEP_2)
	v_fma_f32 v5, -v5, v10, v12
	v_sub_nc_u32_e32 v6, v11, v25
	s_delay_alu instid0(VALU_DEP_2) | instskip(NEXT) | instid1(VALU_DEP_1)
	v_div_fmas_f32 v5, v5, v9, v10
	v_div_fixup_f32 v2, v5, v16, v2
	s_delay_alu instid0(VALU_DEP_1) | instskip(SKIP_1) | instid1(VALU_DEP_2)
	v_bfe_u32 v5, v2, 16, 1
	v_cmp_o_f32_e32 vcc_lo, v2, v2
	v_add3_u32 v5, v2, v5, 0x7fff
	s_delay_alu instid0(VALU_DEP_1) | instskip(NEXT) | instid1(VALU_DEP_1)
	v_and_b32_e32 v5, 0xffff0000, v5
	v_cndmask_b32_e32 v2, 0x7fc00000, v5, vcc_lo
	s_delay_alu instid0(VALU_DEP_1) | instskip(SKIP_1) | instid1(VALU_DEP_2)
	v_div_scale_f32 v5, null, v24, v24, v2
	v_div_scale_f32 v12, vcc_lo, v2, v24, v2
	v_rcp_f32_e32 v9, v5
	s_waitcnt_depctr 0xfff
	v_fma_f32 v10, -v5, v9, 1.0
	s_delay_alu instid0(VALU_DEP_1) | instskip(NEXT) | instid1(VALU_DEP_1)
	v_fmac_f32_e32 v9, v10, v9
	v_mul_f32_e32 v10, v12, v9
	s_delay_alu instid0(VALU_DEP_1) | instskip(NEXT) | instid1(VALU_DEP_1)
	v_fma_f32 v27, -v5, v10, v12
	v_fmac_f32_e32 v10, v27, v9
	s_delay_alu instid0(VALU_DEP_1) | instskip(NEXT) | instid1(VALU_DEP_1)
	v_fma_f32 v5, -v5, v10, v12
	v_div_fmas_f32 v5, v5, v9, v10
	v_add_nc_u32_e32 v9, 1, v6
	s_delay_alu instid0(VALU_DEP_2) | instskip(NEXT) | instid1(VALU_DEP_2)
	v_div_fixup_f32 v2, v5, v24, v2
	v_cvt_f32_i32_e32 v5, v9
	v_cmp_lt_i32_e64 s3, 0, v9
	s_delay_alu instid0(VALU_DEP_3) | instskip(NEXT) | instid1(VALU_DEP_3)
	v_bfe_u32 v6, v2, 16, 1
	v_bfe_u32 v7, v5, 16, 1
	v_cmp_o_f32_e32 vcc_lo, v2, v2
	s_delay_alu instid0(VALU_DEP_3) | instskip(NEXT) | instid1(VALU_DEP_3)
	v_add3_u32 v6, v2, v6, 0x7fff
	v_add3_u32 v5, v5, v7, 0x7fff
	s_delay_alu instid0(VALU_DEP_2) | instskip(NEXT) | instid1(VALU_DEP_2)
	v_and_b32_e32 v6, 0xffff0000, v6
	v_and_b32_e32 v5, 0xffff0000, v5
	s_delay_alu instid0(VALU_DEP_2) | instskip(NEXT) | instid1(VALU_DEP_1)
	v_cndmask_b32_e32 v2, 0x7fc00000, v6, vcc_lo
	v_div_scale_f32 v6, null, v5, v5, v2
	v_div_scale_f32 v10, vcc_lo, v2, v5, v2
	s_delay_alu instid0(VALU_DEP_2) | instskip(SKIP_2) | instid1(VALU_DEP_1)
	v_rcp_f32_e32 v7, v6
	s_waitcnt_depctr 0xfff
	v_fma_f32 v8, -v6, v7, 1.0
	v_fmac_f32_e32 v7, v8, v7
	s_delay_alu instid0(VALU_DEP_1) | instskip(NEXT) | instid1(VALU_DEP_1)
	v_mul_f32_e32 v8, v10, v7
	v_fma_f32 v11, -v6, v8, v10
	s_delay_alu instid0(VALU_DEP_1) | instskip(NEXT) | instid1(VALU_DEP_1)
	v_fmac_f32_e32 v8, v11, v7
	v_fma_f32 v6, -v6, v8, v10
	s_delay_alu instid0(VALU_DEP_1) | instskip(NEXT) | instid1(VALU_DEP_1)
	v_div_fmas_f32 v6, v6, v7, v8
	v_div_fixup_f32 v2, v6, v5, v2
	v_dual_mov_b32 v5, v3 :: v_dual_mov_b32 v6, v25
	s_delay_alu instid0(VALU_DEP_2) | instskip(NEXT) | instid1(VALU_DEP_2)
	v_bfe_u32 v7, v2, 16, 1
	v_ashrrev_i64 v[5:6], 31, v[5:6]
	s_delay_alu instid0(VALU_DEP_2) | instskip(NEXT) | instid1(VALU_DEP_2)
	v_add3_u32 v7, v2, v7, 0x7fff
	v_add_co_u32 v10, vcc_lo, v22, v5
	s_delay_alu instid0(VALU_DEP_3) | instskip(NEXT) | instid1(VALU_DEP_3)
	v_add_co_ci_u32_e32 v11, vcc_lo, v23, v6, vcc_lo
	v_and_b32_e32 v7, 0xffff0000, v7
	v_cmp_o_f32_e32 vcc_lo, v2, v2
	s_delay_alu instid0(VALU_DEP_2)
	v_cndmask_b32_e32 v12, 0x7fc00000, v7, vcc_lo
	s_branch .LBB7_42
.LBB7_41:                               ;   in Loop: Header=BB7_42 Depth=3
	s_or_b32 exec_lo, exec_lo, s13
	s_add_i32 s12, s12, 1
	v_add_co_u32 v10, s4, v10, s10
	v_cmp_ne_u32_e32 vcc_lo, s12, v13
	v_add_co_ci_u32_e64 v11, s4, s11, v11, s4
	s_cbranch_vccz .LBB7_26
.LBB7_42:                               ;   Parent Loop BB7_12 Depth=1
                                        ;     Parent Loop BB7_27 Depth=2
                                        ; =>    This Loop Header: Depth=3
                                        ;         Child Loop BB7_45 Depth 4
                                        ;           Child Loop BB7_48 Depth 5
                                        ;             Child Loop BB7_50 Depth 6
	s_and_saveexec_b32 s13, s2
	s_cbranch_execz .LBB7_41
; %bb.43:                               ;   in Loop: Header=BB7_42 Depth=3
	s_mov_b32 s29, 0
	s_mov_b32 s30, 0
	s_branch .LBB7_45
.LBB7_44:                               ;   in Loop: Header=BB7_45 Depth=4
	s_or_b32 exec_lo, exec_lo, s31
	s_add_i32 s30, s30, 1
	s_delay_alu instid0(SALU_CYCLE_1) | instskip(SKIP_1) | instid1(SALU_CYCLE_1)
	v_cmp_ge_i32_e32 vcc_lo, s30, v19
	s_or_b32 s29, vcc_lo, s29
	s_and_not1_b32 exec_lo, exec_lo, s29
	s_cbranch_execz .LBB7_41
.LBB7_45:                               ;   Parent Loop BB7_12 Depth=1
                                        ;     Parent Loop BB7_27 Depth=2
                                        ;       Parent Loop BB7_42 Depth=3
                                        ; =>      This Loop Header: Depth=4
                                        ;           Child Loop BB7_48 Depth 5
                                        ;             Child Loop BB7_50 Depth 6
	s_and_saveexec_b32 s31, s3
	s_cbranch_execz .LBB7_44
; %bb.46:                               ;   in Loop: Header=BB7_45 Depth=4
	s_mul_i32 s33, s30, s6
	s_mov_b32 s34, 0
	s_mov_b32 s35, 0
	s_branch .LBB7_48
.LBB7_47:                               ;   in Loop: Header=BB7_48 Depth=5
	s_set_inst_prefetch_distance 0x2
	s_or_b32 exec_lo, exec_lo, s36
	s_add_i32 s35, s35, 1
	s_delay_alu instid0(SALU_CYCLE_1) | instskip(SKIP_1) | instid1(SALU_CYCLE_1)
	v_cmp_ge_i32_e32 vcc_lo, s35, v9
	s_or_b32 s34, vcc_lo, s34
	s_and_not1_b32 exec_lo, exec_lo, s34
	s_cbranch_execz .LBB7_44
.LBB7_48:                               ;   Parent Loop BB7_12 Depth=1
                                        ;     Parent Loop BB7_27 Depth=2
                                        ;       Parent Loop BB7_42 Depth=3
                                        ;         Parent Loop BB7_45 Depth=4
                                        ; =>        This Loop Header: Depth=5
                                        ;             Child Loop BB7_50 Depth 6
	s_add_i32 s4, s35, s33
	s_mov_b32 s36, 0
	s_ashr_i32 s5, s4, 31
	s_delay_alu instid0(SALU_CYCLE_1) | instskip(NEXT) | instid1(SALU_CYCLE_1)
	s_lshl_b64 s[4:5], s[4:5], 1
	v_add_co_u32 v2, vcc_lo, v10, s4
	v_add_co_ci_u32_e32 v6, vcc_lo, s5, v11, vcc_lo
	s_delay_alu instid0(VALU_DEP_2)
	v_and_b32_e32 v5, -3, v2
	v_and_b32_e32 v2, 2, v2
	global_load_b32 v8, v[5:6], off
	v_cmp_eq_u64_e32 vcc_lo, 0, v[2:3]
	v_cmp_ne_u32_e64 s4, 0, v2
	s_set_inst_prefetch_distance 0x1
	s_branch .LBB7_50
	.p2align	6
.LBB7_49:                               ;   in Loop: Header=BB7_50 Depth=6
	s_or_b32 exec_lo, exec_lo, s5
	global_atomic_cmpswap_b32 v2, v[5:6], v[7:8], off glc
	s_waitcnt vmcnt(0)
	v_cmp_eq_u32_e64 s5, v8, v2
	v_mov_b32_e32 v8, v2
	s_delay_alu instid0(VALU_DEP_2) | instskip(NEXT) | instid1(SALU_CYCLE_1)
	s_or_b32 s36, s5, s36
	s_and_not1_b32 exec_lo, exec_lo, s36
	s_cbranch_execz .LBB7_47
.LBB7_50:                               ;   Parent Loop BB7_12 Depth=1
                                        ;     Parent Loop BB7_27 Depth=2
                                        ;       Parent Loop BB7_42 Depth=3
                                        ;         Parent Loop BB7_45 Depth=4
                                        ;           Parent Loop BB7_48 Depth=5
                                        ; =>          This Inner Loop Header: Depth=6
	s_waitcnt vmcnt(0)
	v_lshrrev_b32_e32 v2, 16, v8
	s_delay_alu instid0(VALU_DEP_1) | instskip(NEXT) | instid1(VALU_DEP_1)
	v_cndmask_b32_e32 v2, v2, v8, vcc_lo
	v_lshlrev_b32_e32 v2, 16, v2
	s_delay_alu instid0(VALU_DEP_1) | instskip(NEXT) | instid1(VALU_DEP_1)
	v_add_f32_e32 v2, v12, v2
	v_bfe_u32 v7, v2, 16, 1
	v_cmp_o_f32_e64 s5, v2, v2
	s_delay_alu instid0(VALU_DEP_2) | instskip(NEXT) | instid1(VALU_DEP_1)
	v_add3_u32 v7, v2, v7, 0x7fff
	v_lshrrev_b32_e32 v7, 16, v7
	s_delay_alu instid0(VALU_DEP_1) | instskip(SKIP_1) | instid1(SALU_CYCLE_1)
	v_cndmask_b32_e64 v2, 0x7fc0, v7, s5
	s_and_saveexec_b32 s5, s4
	s_xor_b32 s5, exec_lo, s5
; %bb.51:                               ;   in Loop: Header=BB7_50 Depth=6
	v_and_b32_e32 v7, 0xffff, v8
	s_delay_alu instid0(VALU_DEP_1)
	v_lshl_or_b32 v7, v2, 16, v7
                                        ; implicit-def: $vgpr2
; %bb.52:                               ;   in Loop: Header=BB7_50 Depth=6
	s_and_not1_saveexec_b32 s5, s5
	s_cbranch_execz .LBB7_49
; %bb.53:                               ;   in Loop: Header=BB7_50 Depth=6
	v_and_or_b32 v7, 0xffff0000, v8, v2
	s_branch .LBB7_49
.LBB7_54:
	s_endpgm
.LBB7_55:
                                        ; implicit-def: $sgpr16_sgpr17
	s_branch .LBB7_2
.LBB7_56:
                                        ; implicit-def: $vgpr3_vgpr4
	s_load_b32 s23, s[0:1], 0x3c
	s_branch .LBB7_5
.LBB7_57:
                                        ; implicit-def: $vgpr4_vgpr5
	s_load_b32 s21, s[0:1], 0x34
	s_branch .LBB7_9
	.section	.rodata,"a",@progbits
	.p2align	6, 0x0
	.amdhsa_kernel _ZN2at6native12_GLOBAL__N_130atomicadaptiveaveragegradinputIN3c108BFloat16EEEvPT_PKS5_iiiiiil
		.amdhsa_group_segment_fixed_size 0
		.amdhsa_private_segment_fixed_size 0
		.amdhsa_kernarg_size 304
		.amdhsa_user_sgpr_count 14
		.amdhsa_user_sgpr_dispatch_ptr 0
		.amdhsa_user_sgpr_queue_ptr 0
		.amdhsa_user_sgpr_kernarg_segment_ptr 1
		.amdhsa_user_sgpr_dispatch_id 0
		.amdhsa_user_sgpr_private_segment_size 0
		.amdhsa_wavefront_size32 1
		.amdhsa_uses_dynamic_stack 0
		.amdhsa_enable_private_segment 0
		.amdhsa_system_sgpr_workgroup_id_x 1
		.amdhsa_system_sgpr_workgroup_id_y 1
		.amdhsa_system_sgpr_workgroup_id_z 0
		.amdhsa_system_sgpr_workgroup_info 0
		.amdhsa_system_vgpr_workitem_id 1
		.amdhsa_next_free_vgpr 32
		.amdhsa_next_free_sgpr 37
		.amdhsa_reserve_vcc 1
		.amdhsa_float_round_mode_32 0
		.amdhsa_float_round_mode_16_64 0
		.amdhsa_float_denorm_mode_32 3
		.amdhsa_float_denorm_mode_16_64 3
		.amdhsa_dx10_clamp 1
		.amdhsa_ieee_mode 1
		.amdhsa_fp16_overflow 0
		.amdhsa_workgroup_processor_mode 1
		.amdhsa_memory_ordered 1
		.amdhsa_forward_progress 0
		.amdhsa_shared_vgpr_count 0
		.amdhsa_exception_fp_ieee_invalid_op 0
		.amdhsa_exception_fp_denorm_src 0
		.amdhsa_exception_fp_ieee_div_zero 0
		.amdhsa_exception_fp_ieee_overflow 0
		.amdhsa_exception_fp_ieee_underflow 0
		.amdhsa_exception_fp_ieee_inexact 0
		.amdhsa_exception_int_div_zero 0
	.end_amdhsa_kernel
	.section	.text._ZN2at6native12_GLOBAL__N_130atomicadaptiveaveragegradinputIN3c108BFloat16EEEvPT_PKS5_iiiiiil,"axG",@progbits,_ZN2at6native12_GLOBAL__N_130atomicadaptiveaveragegradinputIN3c108BFloat16EEEvPT_PKS5_iiiiiil,comdat
.Lfunc_end7:
	.size	_ZN2at6native12_GLOBAL__N_130atomicadaptiveaveragegradinputIN3c108BFloat16EEEvPT_PKS5_iiiiiil, .Lfunc_end7-_ZN2at6native12_GLOBAL__N_130atomicadaptiveaveragegradinputIN3c108BFloat16EEEvPT_PKS5_iiiiiil
                                        ; -- End function
	.section	.AMDGPU.csdata,"",@progbits
; Kernel info:
; codeLenInByte = 9332
; NumSgprs: 39
; NumVgprs: 32
; ScratchSize: 0
; MemoryBound: 0
; FloatMode: 240
; IeeeMode: 1
; LDSByteSize: 0 bytes/workgroup (compile time only)
; SGPRBlocks: 4
; VGPRBlocks: 3
; NumSGPRsForWavesPerEU: 39
; NumVGPRsForWavesPerEU: 32
; Occupancy: 16
; WaveLimiterHint : 0
; COMPUTE_PGM_RSRC2:SCRATCH_EN: 0
; COMPUTE_PGM_RSRC2:USER_SGPR: 14
; COMPUTE_PGM_RSRC2:TRAP_HANDLER: 0
; COMPUTE_PGM_RSRC2:TGID_X_EN: 1
; COMPUTE_PGM_RSRC2:TGID_Y_EN: 1
; COMPUTE_PGM_RSRC2:TGID_Z_EN: 0
; COMPUTE_PGM_RSRC2:TIDIG_COMP_CNT: 1
	.section	.text._ZN2at6native12_GLOBAL__N_124adaptiveaveragegradinputIddEEvPT_PKS3_iiiiiil,"axG",@progbits,_ZN2at6native12_GLOBAL__N_124adaptiveaveragegradinputIddEEvPT_PKS3_iiiiiil,comdat
	.globl	_ZN2at6native12_GLOBAL__N_124adaptiveaveragegradinputIddEEvPT_PKS3_iiiiiil ; -- Begin function _ZN2at6native12_GLOBAL__N_124adaptiveaveragegradinputIddEEvPT_PKS3_iiiiiil
	.p2align	8
	.type	_ZN2at6native12_GLOBAL__N_124adaptiveaveragegradinputIddEEvPT_PKS3_iiiiiil,@function
_ZN2at6native12_GLOBAL__N_124adaptiveaveragegradinputIddEEvPT_PKS3_iiiiiil: ; @_ZN2at6native12_GLOBAL__N_124adaptiveaveragegradinputIddEEvPT_PKS3_iiiiiil
; %bb.0:
	s_load_b256 s[4:11], s[0:1], 0x10
	s_waitcnt lgkmcnt(0)
	s_add_u32 s18, s14, s10
	s_addc_u32 s19, 0, s11
	s_ashr_i32 s11, s4, 31
	s_mov_b32 s10, s4
	s_delay_alu instid0(SALU_CYCLE_1) | instskip(SKIP_1) | instid1(SALU_CYCLE_1)
	s_or_b64 s[2:3], s[18:19], s[10:11]
	s_mov_b32 s2, 0
	s_cmp_lg_u64 s[2:3], 0
	s_cbranch_scc0 .LBB8_85
; %bb.1:
	s_add_u32 s16, s10, s11
	s_mov_b32 s12, s11
	s_mov_b32 s13, s11
	s_addc_u32 s17, s11, s11
	s_delay_alu instid0(SALU_CYCLE_1) | instskip(NEXT) | instid1(SALU_CYCLE_1)
	s_xor_b64 s[16:17], s[16:17], s[12:13]
	v_cvt_f32_u32_e32 v1, s16
	v_cvt_f32_u32_e32 v2, s17
	s_sub_u32 s14, 0, s16
	s_subb_u32 s20, 0, s17
	s_delay_alu instid0(VALU_DEP_1) | instskip(NEXT) | instid1(VALU_DEP_1)
	v_fmamk_f32 v1, v2, 0x4f800000, v1
	v_rcp_f32_e32 v1, v1
	s_waitcnt_depctr 0xfff
	v_mul_f32_e32 v1, 0x5f7ffffc, v1
	s_delay_alu instid0(VALU_DEP_1) | instskip(NEXT) | instid1(VALU_DEP_1)
	v_mul_f32_e32 v2, 0x2f800000, v1
	v_trunc_f32_e32 v2, v2
	s_delay_alu instid0(VALU_DEP_1) | instskip(SKIP_1) | instid1(VALU_DEP_2)
	v_fmamk_f32 v1, v2, 0xcf800000, v1
	v_cvt_u32_f32_e32 v2, v2
	v_cvt_u32_f32_e32 v1, v1
	s_delay_alu instid0(VALU_DEP_2) | instskip(NEXT) | instid1(VALU_DEP_2)
	v_readfirstlane_b32 s3, v2
	v_readfirstlane_b32 s4, v1
	s_delay_alu instid0(VALU_DEP_2) | instskip(NEXT) | instid1(VALU_DEP_1)
	s_mul_i32 s21, s14, s3
	s_mul_hi_u32 s23, s14, s4
	s_mul_i32 s22, s20, s4
	s_add_i32 s21, s23, s21
	s_mul_i32 s24, s14, s4
	s_add_i32 s21, s21, s22
	s_mul_hi_u32 s23, s4, s24
	s_mul_hi_u32 s25, s3, s24
	s_mul_i32 s22, s3, s24
	s_mul_hi_u32 s24, s4, s21
	s_mul_i32 s4, s4, s21
	s_mul_hi_u32 s26, s3, s21
	s_add_u32 s4, s23, s4
	s_addc_u32 s23, 0, s24
	s_add_u32 s4, s4, s22
	s_mul_i32 s21, s3, s21
	s_addc_u32 s4, s23, s25
	s_addc_u32 s22, s26, 0
	s_add_u32 s4, s4, s21
	s_addc_u32 s21, 0, s22
	v_add_co_u32 v1, s4, v1, s4
	s_delay_alu instid0(VALU_DEP_1) | instskip(SKIP_1) | instid1(VALU_DEP_1)
	s_cmp_lg_u32 s4, 0
	s_addc_u32 s3, s3, s21
	v_readfirstlane_b32 s4, v1
	s_mul_i32 s21, s14, s3
	s_delay_alu instid0(VALU_DEP_1)
	s_mul_hi_u32 s22, s14, s4
	s_mul_i32 s20, s20, s4
	s_add_i32 s21, s22, s21
	s_mul_i32 s14, s14, s4
	s_add_i32 s21, s21, s20
	s_mul_hi_u32 s22, s3, s14
	s_mul_i32 s23, s3, s14
	s_mul_hi_u32 s14, s4, s14
	s_mul_hi_u32 s24, s4, s21
	s_mul_i32 s4, s4, s21
	s_mul_hi_u32 s20, s3, s21
	s_add_u32 s4, s14, s4
	s_addc_u32 s14, 0, s24
	s_add_u32 s4, s4, s23
	s_mul_i32 s21, s3, s21
	s_addc_u32 s4, s14, s22
	s_addc_u32 s14, s20, 0
	s_add_u32 s4, s4, s21
	s_addc_u32 s14, 0, s14
	v_add_co_u32 v1, s4, v1, s4
	s_delay_alu instid0(VALU_DEP_1) | instskip(SKIP_2) | instid1(VALU_DEP_1)
	s_cmp_lg_u32 s4, 0
	s_addc_u32 s3, s3, s14
	s_ashr_i32 s20, s19, 31
	v_readfirstlane_b32 s4, v1
	s_add_u32 s22, s18, s20
	s_mov_b32 s21, s20
	s_addc_u32 s23, s19, s20
	s_delay_alu instid0(SALU_CYCLE_1) | instskip(NEXT) | instid1(SALU_CYCLE_1)
	s_xor_b64 s[22:23], s[22:23], s[20:21]
	s_mul_i32 s24, s22, s3
	s_mul_hi_u32 s25, s22, s4
	s_mul_hi_u32 s14, s22, s3
	;; [unrolled: 1-line block ×3, first 2 shown]
	s_mul_i32 s4, s23, s4
	s_add_u32 s24, s25, s24
	s_addc_u32 s14, 0, s14
	s_mul_hi_u32 s26, s23, s3
	s_add_u32 s4, s24, s4
	s_mul_i32 s3, s23, s3
	s_addc_u32 s4, s14, s27
	s_addc_u32 s14, s26, 0
	s_add_u32 s3, s4, s3
	s_addc_u32 s4, 0, s14
	s_mul_i32 s26, s16, s3
	s_mul_hi_u32 s14, s16, s3
	s_mul_i32 s25, s16, s4
	v_sub_co_u32 v1, s22, s22, s26
	s_mul_i32 s24, s17, s3
	s_add_i32 s14, s14, s25
	s_delay_alu instid0(SALU_CYCLE_1) | instskip(NEXT) | instid1(VALU_DEP_1)
	s_add_i32 s14, s14, s24
	v_sub_co_u32 v2, s25, v1, s16
	s_sub_i32 s24, s23, s14
	s_cmp_lg_u32 s22, 0
	s_subb_u32 s24, s24, s17
	s_cmp_lg_u32 s25, 0
	v_readfirstlane_b32 s25, v2
	s_subb_u32 s24, s24, 0
	s_delay_alu instid0(SALU_CYCLE_1) | instskip(SKIP_1) | instid1(VALU_DEP_1)
	s_cmp_ge_u32 s24, s17
	s_cselect_b32 s26, -1, 0
	s_cmp_ge_u32 s25, s16
	s_cselect_b32 s25, -1, 0
	s_cmp_eq_u32 s24, s17
	s_cselect_b32 s24, s25, s26
	s_add_u32 s25, s3, 1
	s_addc_u32 s26, s4, 0
	s_add_u32 s27, s3, 2
	s_addc_u32 s28, s4, 0
	s_cmp_lg_u32 s24, 0
	s_cselect_b32 s24, s27, s25
	s_cselect_b32 s25, s28, s26
	s_cmp_lg_u32 s22, 0
	v_readfirstlane_b32 s22, v1
	s_subb_u32 s14, s23, s14
	s_delay_alu instid0(SALU_CYCLE_1) | instskip(SKIP_1) | instid1(VALU_DEP_1)
	s_cmp_ge_u32 s14, s17
	s_cselect_b32 s23, -1, 0
	s_cmp_ge_u32 s22, s16
	s_cselect_b32 s16, -1, 0
	s_cmp_eq_u32 s14, s17
	s_cselect_b32 s14, s16, s23
	s_delay_alu instid0(SALU_CYCLE_1) | instskip(SKIP_3) | instid1(SALU_CYCLE_1)
	s_cmp_lg_u32 s14, 0
	s_cselect_b32 s17, s25, s4
	s_cselect_b32 s16, s24, s3
	s_xor_b64 s[12:13], s[20:21], s[12:13]
	s_xor_b64 s[16:17], s[16:17], s[12:13]
	s_delay_alu instid0(SALU_CYCLE_1)
	s_sub_u32 s20, s16, s12
	s_subb_u32 s21, s17, s13
	v_cvt_f32_u32_e32 v1, s10
	s_and_not1_b32 vcc_lo, exec_lo, s2
	s_cbranch_vccnz .LBB8_3
.LBB8_2:
	s_delay_alu instid0(VALU_DEP_1) | instskip(SKIP_4) | instid1(VALU_DEP_1)
	v_rcp_iflag_f32_e32 v2, v1
	s_sub_i32 s3, 0, s10
	s_mov_b32 s21, 0
	s_waitcnt_depctr 0xfff
	v_mul_f32_e32 v2, 0x4f7ffffe, v2
	v_cvt_u32_f32_e32 v2, v2
	s_delay_alu instid0(VALU_DEP_1) | instskip(NEXT) | instid1(VALU_DEP_1)
	v_readfirstlane_b32 s2, v2
	s_mul_i32 s3, s3, s2
	s_delay_alu instid0(SALU_CYCLE_1) | instskip(NEXT) | instid1(SALU_CYCLE_1)
	s_mul_hi_u32 s3, s2, s3
	s_add_i32 s2, s2, s3
	s_delay_alu instid0(SALU_CYCLE_1) | instskip(NEXT) | instid1(SALU_CYCLE_1)
	s_mul_hi_u32 s2, s18, s2
	s_mul_i32 s3, s2, s10
	s_add_i32 s4, s2, 1
	s_sub_i32 s3, s18, s3
	s_delay_alu instid0(SALU_CYCLE_1)
	s_sub_i32 s12, s3, s10
	s_cmp_ge_u32 s3, s10
	s_cselect_b32 s2, s4, s2
	s_cselect_b32 s3, s12, s3
	s_add_i32 s4, s2, 1
	s_cmp_ge_u32 s3, s10
	s_cselect_b32 s20, s4, s2
.LBB8_3:
	s_delay_alu instid0(SALU_CYCLE_1) | instskip(SKIP_4) | instid1(SALU_CYCLE_1)
	s_mul_i32 s2, s20, s11
	s_mul_hi_u32 s3, s20, s10
	s_mul_i32 s4, s20, s10
	s_add_i32 s2, s3, s2
	s_mul_i32 s3, s21, s10
	s_add_i32 s2, s2, s3
	s_sub_u32 s4, s18, s4
	s_subb_u32 s2, s19, s2
	s_ashr_i32 s13, s7, 31
	s_mul_hi_u32 s12, s4, s7
	s_mul_i32 s3, s4, s13
	s_mul_i32 s2, s2, s7
	s_add_i32 s3, s12, s3
	s_mov_b32 s12, s7
	s_add_i32 s3, s3, s2
	s_mul_i32 s2, s4, s7
	s_delay_alu instid0(SALU_CYCLE_1) | instskip(SKIP_1) | instid1(SALU_CYCLE_1)
	s_or_b64 s[22:23], s[2:3], s[10:11]
	s_mov_b32 s22, 0
	s_cmp_lg_u64 s[22:23], 0
	s_cbranch_scc0 .LBB8_86
; %bb.4:
	s_add_u32 s24, s10, s11
	s_mov_b32 s16, s11
	s_mov_b32 s17, s11
	s_addc_u32 s25, s11, s11
	s_delay_alu instid0(SALU_CYCLE_1) | instskip(NEXT) | instid1(SALU_CYCLE_1)
	s_xor_b64 s[24:25], s[24:25], s[16:17]
	v_cvt_f32_u32_e32 v2, s24
	v_cvt_f32_u32_e32 v3, s25
	s_sub_u32 s21, 0, s24
	s_subb_u32 s23, 0, s25
	s_delay_alu instid0(VALU_DEP_1) | instskip(NEXT) | instid1(VALU_DEP_1)
	v_fmamk_f32 v2, v3, 0x4f800000, v2
	v_rcp_f32_e32 v2, v2
	s_waitcnt_depctr 0xfff
	v_mul_f32_e32 v2, 0x5f7ffffc, v2
	s_delay_alu instid0(VALU_DEP_1) | instskip(NEXT) | instid1(VALU_DEP_1)
	v_mul_f32_e32 v3, 0x2f800000, v2
	v_trunc_f32_e32 v3, v3
	s_delay_alu instid0(VALU_DEP_1) | instskip(SKIP_1) | instid1(VALU_DEP_2)
	v_fmamk_f32 v2, v3, 0xcf800000, v2
	v_cvt_u32_f32_e32 v3, v3
	v_cvt_u32_f32_e32 v2, v2
	s_delay_alu instid0(VALU_DEP_2) | instskip(NEXT) | instid1(VALU_DEP_2)
	v_readfirstlane_b32 s4, v3
	v_readfirstlane_b32 s14, v2
	s_delay_alu instid0(VALU_DEP_2) | instskip(NEXT) | instid1(VALU_DEP_1)
	s_mul_i32 s26, s21, s4
	s_mul_hi_u32 s28, s21, s14
	s_mul_i32 s27, s23, s14
	s_add_i32 s26, s28, s26
	s_mul_i32 s29, s21, s14
	s_add_i32 s26, s26, s27
	s_mul_hi_u32 s28, s14, s29
	s_mul_hi_u32 s30, s4, s29
	s_mul_i32 s27, s4, s29
	s_mul_hi_u32 s29, s14, s26
	s_mul_i32 s14, s14, s26
	s_mul_hi_u32 s31, s4, s26
	s_add_u32 s14, s28, s14
	s_addc_u32 s28, 0, s29
	s_add_u32 s14, s14, s27
	s_mul_i32 s26, s4, s26
	s_addc_u32 s14, s28, s30
	s_addc_u32 s27, s31, 0
	s_add_u32 s14, s14, s26
	s_addc_u32 s26, 0, s27
	v_add_co_u32 v2, s14, v2, s14
	s_delay_alu instid0(VALU_DEP_1) | instskip(SKIP_1) | instid1(VALU_DEP_1)
	s_cmp_lg_u32 s14, 0
	s_addc_u32 s4, s4, s26
	v_readfirstlane_b32 s14, v2
	s_mul_i32 s26, s21, s4
	s_delay_alu instid0(VALU_DEP_1)
	s_mul_hi_u32 s27, s21, s14
	s_mul_i32 s23, s23, s14
	s_add_i32 s26, s27, s26
	s_mul_i32 s21, s21, s14
	s_add_i32 s26, s26, s23
	s_mul_hi_u32 s27, s4, s21
	s_mul_i32 s28, s4, s21
	s_mul_hi_u32 s21, s14, s21
	s_mul_hi_u32 s29, s14, s26
	s_mul_i32 s14, s14, s26
	s_mul_hi_u32 s23, s4, s26
	s_add_u32 s14, s21, s14
	s_addc_u32 s21, 0, s29
	s_add_u32 s14, s14, s28
	s_mul_i32 s26, s4, s26
	s_addc_u32 s14, s21, s27
	s_addc_u32 s21, s23, 0
	s_add_u32 s14, s14, s26
	s_addc_u32 s21, 0, s21
	v_add_co_u32 v2, s14, v2, s14
	s_delay_alu instid0(VALU_DEP_1) | instskip(SKIP_2) | instid1(VALU_DEP_1)
	s_cmp_lg_u32 s14, 0
	s_addc_u32 s4, s4, s21
	s_ashr_i32 s26, s3, 31
	v_readfirstlane_b32 s14, v2
	s_add_u32 s28, s2, s26
	s_mov_b32 s27, s26
	s_addc_u32 s29, s3, s26
	s_delay_alu instid0(SALU_CYCLE_1) | instskip(NEXT) | instid1(SALU_CYCLE_1)
	s_xor_b64 s[28:29], s[28:29], s[26:27]
	s_mul_i32 s23, s28, s4
	s_mul_hi_u32 s30, s28, s14
	s_mul_hi_u32 s21, s28, s4
	;; [unrolled: 1-line block ×3, first 2 shown]
	s_mul_i32 s14, s29, s14
	s_add_u32 s23, s30, s23
	s_addc_u32 s21, 0, s21
	s_mul_hi_u32 s31, s29, s4
	s_add_u32 s14, s23, s14
	s_mul_i32 s4, s29, s4
	s_addc_u32 s14, s21, s33
	s_addc_u32 s21, s31, 0
	s_add_u32 s4, s14, s4
	s_addc_u32 s14, 0, s21
	s_mul_i32 s31, s24, s4
	s_mul_hi_u32 s21, s24, s4
	s_mul_i32 s30, s24, s14
	v_sub_co_u32 v2, s28, s28, s31
	s_mul_i32 s23, s25, s4
	s_add_i32 s21, s21, s30
	s_delay_alu instid0(SALU_CYCLE_1) | instskip(NEXT) | instid1(VALU_DEP_1)
	s_add_i32 s21, s21, s23
	v_sub_co_u32 v3, s30, v2, s24
	s_sub_i32 s23, s29, s21
	s_cmp_lg_u32 s28, 0
	s_subb_u32 s23, s23, s25
	s_cmp_lg_u32 s30, 0
	v_readfirstlane_b32 s30, v3
	s_subb_u32 s23, s23, 0
	s_delay_alu instid0(SALU_CYCLE_1) | instskip(SKIP_1) | instid1(VALU_DEP_1)
	s_cmp_ge_u32 s23, s25
	s_cselect_b32 s31, -1, 0
	s_cmp_ge_u32 s30, s24
	s_cselect_b32 s30, -1, 0
	s_cmp_eq_u32 s23, s25
	s_cselect_b32 s23, s30, s31
	s_add_u32 s30, s4, 1
	s_addc_u32 s31, s14, 0
	s_add_u32 s33, s4, 2
	s_addc_u32 s34, s14, 0
	s_cmp_lg_u32 s23, 0
	s_cselect_b32 s23, s33, s30
	s_cselect_b32 s30, s34, s31
	s_cmp_lg_u32 s28, 0
	v_readfirstlane_b32 s28, v2
	s_subb_u32 s21, s29, s21
	s_delay_alu instid0(SALU_CYCLE_1) | instskip(SKIP_1) | instid1(VALU_DEP_1)
	s_cmp_ge_u32 s21, s25
	s_cselect_b32 s29, -1, 0
	s_cmp_ge_u32 s28, s24
	s_cselect_b32 s24, -1, 0
	s_cmp_eq_u32 s21, s25
	s_cselect_b32 s21, s24, s29
	s_delay_alu instid0(SALU_CYCLE_1) | instskip(SKIP_3) | instid1(SALU_CYCLE_1)
	s_cmp_lg_u32 s21, 0
	s_cselect_b32 s25, s30, s14
	s_cselect_b32 s24, s23, s4
	s_xor_b64 s[16:17], s[26:27], s[16:17]
	s_xor_b64 s[24:25], s[24:25], s[16:17]
	s_delay_alu instid0(SALU_CYCLE_1)
	s_sub_u32 s16, s24, s16
	s_and_not1_b32 vcc_lo, exec_lo, s22
	s_cbranch_vccnz .LBB8_6
.LBB8_5:
	v_rcp_iflag_f32_e32 v2, v1
	s_sub_i32 s14, 0, s10
	s_waitcnt_depctr 0xfff
	v_mul_f32_e32 v2, 0x4f7ffffe, v2
	s_delay_alu instid0(VALU_DEP_1) | instskip(NEXT) | instid1(VALU_DEP_1)
	v_cvt_u32_f32_e32 v2, v2
	v_readfirstlane_b32 s4, v2
	s_delay_alu instid0(VALU_DEP_1) | instskip(NEXT) | instid1(SALU_CYCLE_1)
	s_mul_i32 s14, s14, s4
	s_mul_hi_u32 s14, s4, s14
	s_delay_alu instid0(SALU_CYCLE_1) | instskip(NEXT) | instid1(SALU_CYCLE_1)
	s_add_i32 s4, s4, s14
	s_mul_hi_u32 s4, s2, s4
	s_delay_alu instid0(SALU_CYCLE_1) | instskip(SKIP_2) | instid1(SALU_CYCLE_1)
	s_mul_i32 s14, s4, s10
	s_add_i32 s16, s4, 1
	s_sub_i32 s14, s2, s14
	s_sub_i32 s17, s14, s10
	s_cmp_ge_u32 s14, s10
	s_cselect_b32 s4, s16, s4
	s_cselect_b32 s14, s17, s14
	s_add_i32 s16, s4, 1
	s_cmp_ge_u32 s14, s10
	s_cselect_b32 s16, s16, s4
.LBB8_6:
	s_add_u32 s2, s2, s12
	s_addc_u32 s3, s3, s13
	s_add_u32 s22, s2, -1
	s_addc_u32 s23, s3, -1
	s_delay_alu instid0(SALU_CYCLE_1) | instskip(SKIP_1) | instid1(SALU_CYCLE_1)
	s_or_b64 s[24:25], s[22:23], s[10:11]
	s_mov_b32 s24, 0
	s_cmp_lg_u64 s[24:25], 0
	s_cbranch_scc0 .LBB8_87
; %bb.7:
	s_add_u32 s2, s10, s11
	s_mov_b32 s26, s11
	s_mov_b32 s27, s11
	s_addc_u32 s3, s11, s11
	s_delay_alu instid0(SALU_CYCLE_1) | instskip(NEXT) | instid1(SALU_CYCLE_1)
	s_xor_b64 s[2:3], s[2:3], s[26:27]
	v_cvt_f32_u32_e32 v2, s2
	v_cvt_f32_u32_e32 v3, s3
	s_sub_u32 s17, 0, s2
	s_subb_u32 s21, 0, s3
	s_delay_alu instid0(VALU_DEP_1) | instskip(NEXT) | instid1(VALU_DEP_1)
	v_fmamk_f32 v2, v3, 0x4f800000, v2
	v_rcp_f32_e32 v2, v2
	s_waitcnt_depctr 0xfff
	v_mul_f32_e32 v2, 0x5f7ffffc, v2
	s_delay_alu instid0(VALU_DEP_1) | instskip(NEXT) | instid1(VALU_DEP_1)
	v_mul_f32_e32 v3, 0x2f800000, v2
	v_trunc_f32_e32 v3, v3
	s_delay_alu instid0(VALU_DEP_1) | instskip(SKIP_1) | instid1(VALU_DEP_2)
	v_fmamk_f32 v2, v3, 0xcf800000, v2
	v_cvt_u32_f32_e32 v3, v3
	v_cvt_u32_f32_e32 v2, v2
	s_delay_alu instid0(VALU_DEP_2) | instskip(NEXT) | instid1(VALU_DEP_2)
	v_readfirstlane_b32 s4, v3
	v_readfirstlane_b32 s14, v2
	s_delay_alu instid0(VALU_DEP_2) | instskip(NEXT) | instid1(VALU_DEP_1)
	s_mul_i32 s25, s17, s4
	s_mul_hi_u32 s29, s17, s14
	s_mul_i32 s28, s21, s14
	s_add_i32 s25, s29, s25
	s_mul_i32 s30, s17, s14
	s_add_i32 s25, s25, s28
	s_mul_hi_u32 s29, s14, s30
	s_mul_hi_u32 s31, s4, s30
	s_mul_i32 s28, s4, s30
	s_mul_hi_u32 s30, s14, s25
	s_mul_i32 s14, s14, s25
	s_mul_hi_u32 s33, s4, s25
	s_add_u32 s14, s29, s14
	s_addc_u32 s29, 0, s30
	s_add_u32 s14, s14, s28
	s_mul_i32 s25, s4, s25
	s_addc_u32 s14, s29, s31
	s_addc_u32 s28, s33, 0
	s_add_u32 s14, s14, s25
	s_addc_u32 s25, 0, s28
	v_add_co_u32 v2, s14, v2, s14
	s_delay_alu instid0(VALU_DEP_1) | instskip(SKIP_1) | instid1(VALU_DEP_1)
	s_cmp_lg_u32 s14, 0
	s_addc_u32 s4, s4, s25
	v_readfirstlane_b32 s14, v2
	s_mul_i32 s25, s17, s4
	s_delay_alu instid0(VALU_DEP_1)
	s_mul_hi_u32 s28, s17, s14
	s_mul_i32 s21, s21, s14
	s_add_i32 s25, s28, s25
	s_mul_i32 s17, s17, s14
	s_add_i32 s25, s25, s21
	s_mul_hi_u32 s28, s4, s17
	s_mul_i32 s29, s4, s17
	s_mul_hi_u32 s17, s14, s17
	s_mul_hi_u32 s30, s14, s25
	s_mul_i32 s14, s14, s25
	s_mul_hi_u32 s21, s4, s25
	s_add_u32 s14, s17, s14
	s_addc_u32 s17, 0, s30
	s_add_u32 s14, s14, s29
	s_mul_i32 s25, s4, s25
	s_addc_u32 s14, s17, s28
	s_addc_u32 s17, s21, 0
	s_add_u32 s14, s14, s25
	s_addc_u32 s17, 0, s17
	v_add_co_u32 v2, s14, v2, s14
	s_delay_alu instid0(VALU_DEP_1) | instskip(SKIP_2) | instid1(VALU_DEP_1)
	s_cmp_lg_u32 s14, 0
	s_addc_u32 s4, s4, s17
	s_ashr_i32 s28, s23, 31
	v_readfirstlane_b32 s14, v2
	s_add_u32 s30, s22, s28
	s_mov_b32 s29, s28
	s_addc_u32 s31, s23, s28
	s_delay_alu instid0(SALU_CYCLE_1) | instskip(NEXT) | instid1(SALU_CYCLE_1)
	s_xor_b64 s[30:31], s[30:31], s[28:29]
	s_mul_i32 s21, s30, s4
	s_mul_hi_u32 s23, s30, s14
	s_mul_hi_u32 s17, s30, s4
	;; [unrolled: 1-line block ×3, first 2 shown]
	s_mul_i32 s14, s31, s14
	s_add_u32 s21, s23, s21
	s_addc_u32 s17, 0, s17
	s_mul_hi_u32 s25, s31, s4
	s_add_u32 s14, s21, s14
	s_mul_i32 s4, s31, s4
	s_addc_u32 s14, s17, s33
	s_addc_u32 s17, s25, 0
	s_add_u32 s4, s14, s4
	s_addc_u32 s14, 0, s17
	s_mul_hi_u32 s17, s2, s4
	s_mul_i32 s14, s2, s14
	s_mul_i32 s23, s2, s4
	;; [unrolled: 1-line block ×3, first 2 shown]
	s_add_i32 s14, s17, s14
	v_sub_co_u32 v2, s17, s30, s23
	s_add_i32 s14, s14, s21
	s_delay_alu instid0(SALU_CYCLE_1) | instskip(SKIP_1) | instid1(VALU_DEP_1)
	s_sub_i32 s21, s31, s14
	s_cmp_lg_u32 s17, 0
	v_sub_co_u32 v3, s23, v2, s2
	s_subb_u32 s21, s21, s3
	s_cmp_lg_u32 s23, 0
	s_subb_u32 s21, s21, 0
	s_delay_alu instid0(VALU_DEP_1)
	v_cmp_le_u32_e32 vcc_lo, s2, v3
	s_cmp_ge_u32 s21, s3
	v_cmp_le_u32_e64 s2, s2, v2
	s_cselect_b32 s23, -1, 0
	s_cmp_eq_u32 s21, s3
	v_cndmask_b32_e64 v3, 0, -1, vcc_lo
	s_cselect_b32 vcc_lo, -1, 0
	s_add_u32 s21, s4, 1
	s_add_u32 s25, s4, 2
	s_cmp_lg_u32 s17, 0
	v_mov_b32_e32 v4, s25
	v_cndmask_b32_e64 v2, 0, -1, s2
	s_subb_u32 s2, s31, s14
	v_cndmask_b32_e32 v3, s23, v3, vcc_lo
	s_cmp_ge_u32 s2, s3
	s_cselect_b32 s14, -1, 0
	s_cmp_eq_u32 s2, s3
	s_cselect_b32 vcc_lo, -1, 0
	s_xor_b64 s[2:3], s[28:29], s[26:27]
	v_cndmask_b32_e32 v2, s14, v2, vcc_lo
	v_cmp_ne_u32_e32 vcc_lo, 0, v3
	v_cndmask_b32_e32 v3, s21, v4, vcc_lo
	s_delay_alu instid0(VALU_DEP_3) | instskip(NEXT) | instid1(VALU_DEP_2)
	v_cmp_ne_u32_e32 vcc_lo, 0, v2
	v_cndmask_b32_e32 v2, s4, v3, vcc_lo
	s_delay_alu instid0(VALU_DEP_1) | instskip(NEXT) | instid1(VALU_DEP_1)
	v_xor_b32_e32 v2, s2, v2
	v_sub_co_u32 v3, vcc_lo, v2, s2
	s_load_b32 s2, s[0:1], 0x3c
	s_and_not1_b32 vcc_lo, exec_lo, s24
	s_cbranch_vccnz .LBB8_9
.LBB8_8:
	v_rcp_iflag_f32_e32 v1, v1
	s_sub_i32 s3, 0, s10
	s_waitcnt_depctr 0xfff
	v_mul_f32_e32 v1, 0x4f7ffffe, v1
	s_delay_alu instid0(VALU_DEP_1) | instskip(NEXT) | instid1(VALU_DEP_1)
	v_cvt_u32_f32_e32 v1, v1
	v_mul_lo_u32 v2, s3, v1
	s_delay_alu instid0(VALU_DEP_1) | instskip(NEXT) | instid1(VALU_DEP_1)
	v_mul_hi_u32 v2, v1, v2
	v_add_nc_u32_e32 v1, v1, v2
	s_delay_alu instid0(VALU_DEP_1) | instskip(NEXT) | instid1(VALU_DEP_1)
	v_mul_hi_u32 v1, s22, v1
	v_mul_lo_u32 v2, v1, s10
	v_add_nc_u32_e32 v3, 1, v1
	s_delay_alu instid0(VALU_DEP_2) | instskip(NEXT) | instid1(VALU_DEP_1)
	v_sub_nc_u32_e32 v2, s22, v2
	v_subrev_nc_u32_e32 v4, s10, v2
	v_cmp_le_u32_e32 vcc_lo, s10, v2
	s_delay_alu instid0(VALU_DEP_2) | instskip(NEXT) | instid1(VALU_DEP_1)
	v_dual_cndmask_b32 v2, v2, v4 :: v_dual_cndmask_b32 v1, v1, v3
	v_cmp_le_u32_e32 vcc_lo, s10, v2
	s_delay_alu instid0(VALU_DEP_2) | instskip(NEXT) | instid1(VALU_DEP_1)
	v_add_nc_u32_e32 v3, 1, v1
	v_cndmask_b32_e32 v3, v1, v3, vcc_lo
.LBB8_9:
	v_bfe_u32 v4, v0, 10, 10
	s_waitcnt lgkmcnt(0)
	s_lshr_b32 s3, s2, 16
	s_mov_b32 s4, exec_lo
	s_delay_alu instid0(VALU_DEP_1) | instskip(NEXT) | instid1(VALU_DEP_1)
	v_mad_u64_u32 v[1:2], null, s15, s3, v[4:5]
	v_cmpx_gt_i32_e64 s5, v1
	s_cbranch_execz .LBB8_84
; %bb.10:
	s_clause 0x1
	s_load_b128 s[24:27], s[0:1], 0x0
	s_load_b32 s43, s[0:1], 0x34
	s_mul_i32 s4, s6, s5
	s_mul_hi_i32 s14, s6, s5
	s_mul_i32 s15, s4, s19
	s_mul_hi_u32 s19, s4, s18
	s_mul_i32 s21, s14, s18
	s_add_i32 s15, s19, s15
	s_mul_i32 s14, s4, s18
	s_add_i32 s15, s15, s21
	s_ashr_i32 s17, s5, 31
	s_lshl_b64 s[14:15], s[14:15], 3
	s_ashr_i32 s33, s6, 31
	s_mul_i32 s4, s20, s7
	s_mul_i32 s18, s9, s8
	s_mov_b32 s37, s5
	v_add_nc_u32_e32 v32, 1, v3
	v_cvt_f32_u32_e32 v4, s37
	v_and_b32_e32 v33, 0x3ff, v0
	s_mov_b32 s40, s6
	s_waitcnt lgkmcnt(0)
	s_add_u32 s7, s24, s14
	s_addc_u32 s36, s25, s15
	s_add_i32 s4, s4, s16
	v_rcp_iflag_f32_e32 v4, v4
	s_mul_i32 s14, s18, s4
	s_mov_b32 s41, s8
	s_ashr_i32 s15, s14, 31
	s_mov_b32 s42, s9
	s_lshl_b64 s[14:15], s[14:15], 3
	s_mul_i32 s43, s43, s3
	s_add_u32 s14, s26, s14
	s_addc_u32 s15, s27, s15
	s_ashr_i32 s38, s5, 31
	s_waitcnt_depctr 0xfff
	v_mul_f32_e32 v4, 0x4f7ffffe, v4
	s_add_i32 s4, s5, s38
	s_sub_i32 s1, 0, s5
	s_xor_b32 s39, s4, s38
	s_ashr_i32 s19, s18, 31
	v_cvt_f32_u32_e32 v2, s39
	v_cvt_u32_f32_e32 v4, v4
	s_sub_i32 s0, 0, s39
	s_and_b32 s44, s2, 0xffff
	s_ashr_i32 s45, s8, 31
	v_rcp_iflag_f32_e32 v2, v2
	v_mul_lo_u32 v6, s1, v4
	v_cmp_lt_i32_e64 s1, s16, v32
	s_ashr_i32 s46, s9, 31
	s_lshl_b64 s[18:19], s[18:19], 3
	s_mov_b32 s20, 0
	s_mov_b32 s47, 0
	s_waitcnt_depctr 0xfff
	v_mul_f32_e32 v2, 0x4f7ffffe, v2
	s_delay_alu instid0(VALU_DEP_1) | instskip(SKIP_1) | instid1(VALU_DEP_2)
	v_cvt_u32_f32_e32 v5, v2
	v_mov_b32_e32 v2, 0
	v_mul_lo_u32 v3, s0, v5
	v_cmp_gt_i32_e64 s0, s6, v33
	s_delay_alu instid0(VALU_DEP_2) | instskip(SKIP_1) | instid1(VALU_DEP_2)
	v_mul_hi_u32 v0, v5, v3
	v_mul_hi_u32 v3, v4, v6
	v_add_nc_u32_e32 v34, v5, v0
	s_delay_alu instid0(VALU_DEP_2)
	v_add_nc_u32_e32 v35, v4, v3
	s_branch .LBB8_12
.LBB8_11:                               ;   in Loop: Header=BB8_12 Depth=1
	s_or_b32 exec_lo, exec_lo, s48
	v_add_nc_u32_e32 v1, s43, v1
	s_delay_alu instid0(VALU_DEP_1) | instskip(SKIP_1) | instid1(SALU_CYCLE_1)
	v_cmp_le_i32_e32 vcc_lo, s5, v1
	s_or_b32 s47, vcc_lo, s47
	s_and_not1_b32 exec_lo, exec_lo, s47
	s_cbranch_execz .LBB8_84
.LBB8_12:                               ; =>This Loop Header: Depth=1
                                        ;     Child Loop BB8_27 Depth 2
                                        ;       Child Loop BB8_42 Depth 3
                                        ;         Child Loop BB8_54 Depth 4
                                        ;           Child Loop BB8_69 Depth 5
	v_ashrrev_i32_e32 v0, 31, v1
	s_mov_b32 s2, exec_lo
                                        ; implicit-def: $vgpr7_vgpr8
	s_delay_alu instid0(VALU_DEP_1) | instskip(NEXT) | instid1(VALU_DEP_1)
	v_or_b32_e32 v3, s17, v0
	v_cmpx_ne_u64_e32 0, v[2:3]
	s_xor_b32 s2, exec_lo, s2
	s_cbranch_execz .LBB8_14
; %bb.13:                               ;   in Loop: Header=BB8_12 Depth=1
	v_ashrrev_i32_e32 v3, 31, v1
	s_delay_alu instid0(VALU_DEP_1) | instskip(NEXT) | instid1(VALU_DEP_1)
	v_add_nc_u32_e32 v4, v1, v3
	v_xor_b32_e32 v4, v4, v3
	v_xor_b32_e32 v3, s38, v3
	s_delay_alu instid0(VALU_DEP_2) | instskip(NEXT) | instid1(VALU_DEP_1)
	v_mul_hi_u32 v5, v4, v34
	v_mul_lo_u32 v6, v5, s39
	s_delay_alu instid0(VALU_DEP_1) | instskip(SKIP_1) | instid1(VALU_DEP_2)
	v_sub_nc_u32_e32 v4, v4, v6
	v_add_nc_u32_e32 v6, 1, v5
	v_subrev_nc_u32_e32 v7, s39, v4
	v_cmp_le_u32_e32 vcc_lo, s39, v4
	s_delay_alu instid0(VALU_DEP_2) | instskip(NEXT) | instid1(VALU_DEP_1)
	v_dual_cndmask_b32 v4, v4, v7 :: v_dual_cndmask_b32 v5, v5, v6
	v_cmp_le_u32_e32 vcc_lo, s39, v4
	s_delay_alu instid0(VALU_DEP_2) | instskip(NEXT) | instid1(VALU_DEP_1)
	v_add_nc_u32_e32 v6, 1, v5
	v_cndmask_b32_e32 v4, v5, v6, vcc_lo
	s_delay_alu instid0(VALU_DEP_1) | instskip(NEXT) | instid1(VALU_DEP_1)
	v_xor_b32_e32 v4, v4, v3
	v_sub_nc_u32_e32 v7, v4, v3
	s_delay_alu instid0(VALU_DEP_1)
	v_ashrrev_i32_e32 v8, 31, v7
.LBB8_14:                               ;   in Loop: Header=BB8_12 Depth=1
	s_and_not1_saveexec_b32 s2, s2
; %bb.15:                               ;   in Loop: Header=BB8_12 Depth=1
	v_mul_hi_u32 v3, v1, v35
	v_mov_b32_e32 v8, v2
	s_delay_alu instid0(VALU_DEP_2) | instskip(NEXT) | instid1(VALU_DEP_1)
	v_mul_lo_u32 v4, v3, s37
	v_sub_nc_u32_e32 v4, v1, v4
	s_delay_alu instid0(VALU_DEP_1) | instskip(SKIP_1) | instid1(VALU_DEP_2)
	v_subrev_nc_u32_e32 v6, s37, v4
	v_cmp_le_u32_e32 vcc_lo, s37, v4
	v_dual_cndmask_b32 v4, v4, v6 :: v_dual_add_nc_u32 v5, 1, v3
	s_delay_alu instid0(VALU_DEP_1) | instskip(NEXT) | instid1(VALU_DEP_2)
	v_cndmask_b32_e32 v3, v3, v5, vcc_lo
	v_cmp_le_u32_e32 vcc_lo, s37, v4
	s_delay_alu instid0(VALU_DEP_2) | instskip(NEXT) | instid1(VALU_DEP_1)
	v_add_nc_u32_e32 v5, 1, v3
	v_cndmask_b32_e32 v7, v3, v5, vcc_lo
; %bb.16:                               ;   in Loop: Header=BB8_12 Depth=1
	s_or_b32 exec_lo, exec_lo, s2
	v_mul_lo_u32 v5, v8, s37
	s_delay_alu instid0(VALU_DEP_2) | instskip(SKIP_2) | instid1(VALU_DEP_1)
	v_mul_lo_u32 v6, v7, s17
	v_mad_u64_u32 v[3:4], null, v7, s37, 0
	s_mov_b32 s2, exec_lo
	v_add3_u32 v4, v4, v6, v5
	s_delay_alu instid0(VALU_DEP_2) | instskip(NEXT) | instid1(VALU_DEP_2)
	v_sub_co_u32 v3, vcc_lo, v1, v3
	v_sub_co_ci_u32_e32 v4, vcc_lo, v0, v4, vcc_lo
	s_delay_alu instid0(VALU_DEP_2) | instskip(NEXT) | instid1(VALU_DEP_2)
	v_mul_lo_u32 v6, v3, s45
	v_mul_lo_u32 v8, v4, s41
	v_mad_u64_u32 v[4:5], null, v3, s41, 0
	s_delay_alu instid0(VALU_DEP_1) | instskip(NEXT) | instid1(VALU_DEP_1)
	v_add3_u32 v5, v5, v6, v8
                                        ; implicit-def: $vgpr8_vgpr9
	v_or_b32_e32 v3, s17, v5
	s_delay_alu instid0(VALU_DEP_1)
	v_cmpx_ne_u64_e32 0, v[2:3]
	s_xor_b32 s3, exec_lo, s2
	s_cbranch_execz .LBB8_18
; %bb.17:                               ;   in Loop: Header=BB8_12 Depth=1
	s_add_u32 s24, s37, s17
	s_mov_b32 s22, s17
	s_mov_b32 s23, s17
	s_addc_u32 s25, s17, s17
	s_delay_alu instid0(SALU_CYCLE_1) | instskip(NEXT) | instid1(SALU_CYCLE_1)
	s_xor_b64 s[24:25], s[24:25], s[22:23]
	v_cvt_f32_u32_e32 v3, s24
	v_cvt_f32_u32_e32 v6, s25
	s_sub_u32 s2, 0, s24
	s_subb_u32 s4, 0, s25
	s_delay_alu instid0(VALU_DEP_1) | instskip(NEXT) | instid1(VALU_DEP_1)
	v_fmac_f32_e32 v3, 0x4f800000, v6
	v_rcp_f32_e32 v3, v3
	s_waitcnt_depctr 0xfff
	v_mul_f32_e32 v3, 0x5f7ffffc, v3
	s_delay_alu instid0(VALU_DEP_1) | instskip(NEXT) | instid1(VALU_DEP_1)
	v_mul_f32_e32 v6, 0x2f800000, v3
	v_trunc_f32_e32 v6, v6
	s_delay_alu instid0(VALU_DEP_1) | instskip(SKIP_1) | instid1(VALU_DEP_2)
	v_fmac_f32_e32 v3, 0xcf800000, v6
	v_cvt_u32_f32_e32 v6, v6
	v_cvt_u32_f32_e32 v3, v3
	s_delay_alu instid0(VALU_DEP_2) | instskip(NEXT) | instid1(VALU_DEP_2)
	v_mul_lo_u32 v8, s2, v6
	v_mul_hi_u32 v9, s2, v3
	v_mul_lo_u32 v10, s4, v3
	s_delay_alu instid0(VALU_DEP_2) | instskip(SKIP_1) | instid1(VALU_DEP_2)
	v_add_nc_u32_e32 v8, v9, v8
	v_mul_lo_u32 v9, s2, v3
	v_add_nc_u32_e32 v8, v8, v10
	s_delay_alu instid0(VALU_DEP_2) | instskip(NEXT) | instid1(VALU_DEP_2)
	v_mul_hi_u32 v10, v3, v9
	v_mul_lo_u32 v11, v3, v8
	v_mul_hi_u32 v12, v3, v8
	v_mul_hi_u32 v13, v6, v9
	v_mul_lo_u32 v9, v6, v9
	v_mul_hi_u32 v14, v6, v8
	v_mul_lo_u32 v8, v6, v8
	v_add_co_u32 v10, vcc_lo, v10, v11
	v_add_co_ci_u32_e32 v11, vcc_lo, 0, v12, vcc_lo
	s_delay_alu instid0(VALU_DEP_2) | instskip(NEXT) | instid1(VALU_DEP_2)
	v_add_co_u32 v9, vcc_lo, v10, v9
	v_add_co_ci_u32_e32 v9, vcc_lo, v11, v13, vcc_lo
	v_add_co_ci_u32_e32 v10, vcc_lo, 0, v14, vcc_lo
	v_ashrrev_i32_e32 v13, 31, v5
	s_delay_alu instid0(VALU_DEP_3) | instskip(NEXT) | instid1(VALU_DEP_3)
	v_add_co_u32 v8, vcc_lo, v9, v8
	v_add_co_ci_u32_e32 v9, vcc_lo, 0, v10, vcc_lo
	s_delay_alu instid0(VALU_DEP_2) | instskip(NEXT) | instid1(VALU_DEP_2)
	v_add_co_u32 v3, vcc_lo, v3, v8
	v_add_co_ci_u32_e32 v6, vcc_lo, v6, v9, vcc_lo
	s_delay_alu instid0(VALU_DEP_2) | instskip(SKIP_1) | instid1(VALU_DEP_3)
	v_mul_hi_u32 v8, s2, v3
	v_mul_lo_u32 v10, s4, v3
	v_mul_lo_u32 v9, s2, v6
	s_delay_alu instid0(VALU_DEP_1) | instskip(SKIP_1) | instid1(VALU_DEP_2)
	v_add_nc_u32_e32 v8, v8, v9
	v_mul_lo_u32 v9, s2, v3
	v_add_nc_u32_e32 v8, v8, v10
	s_delay_alu instid0(VALU_DEP_2) | instskip(NEXT) | instid1(VALU_DEP_2)
	v_mul_hi_u32 v10, v3, v9
	v_mul_lo_u32 v11, v3, v8
	v_mul_hi_u32 v12, v3, v8
	v_mul_hi_u32 v14, v6, v9
	v_mul_lo_u32 v9, v6, v9
	v_mul_hi_u32 v15, v6, v8
	v_mul_lo_u32 v8, v6, v8
	v_add_co_u32 v10, vcc_lo, v10, v11
	v_add_co_ci_u32_e32 v11, vcc_lo, 0, v12, vcc_lo
	s_delay_alu instid0(VALU_DEP_2) | instskip(NEXT) | instid1(VALU_DEP_2)
	v_add_co_u32 v9, vcc_lo, v10, v9
	v_add_co_ci_u32_e32 v9, vcc_lo, v11, v14, vcc_lo
	v_add_co_ci_u32_e32 v10, vcc_lo, 0, v15, vcc_lo
	v_add_co_u32 v4, vcc_lo, v4, v13
	v_add_co_ci_u32_e32 v5, vcc_lo, v5, v13, vcc_lo
	s_delay_alu instid0(VALU_DEP_4) | instskip(NEXT) | instid1(VALU_DEP_4)
	v_add_co_u32 v8, vcc_lo, v9, v8
	v_add_co_ci_u32_e32 v9, vcc_lo, 0, v10, vcc_lo
	s_delay_alu instid0(VALU_DEP_4) | instskip(NEXT) | instid1(VALU_DEP_3)
	v_xor_b32_e32 v10, v4, v13
	v_add_co_u32 v8, vcc_lo, v3, v8
	s_delay_alu instid0(VALU_DEP_3) | instskip(SKIP_1) | instid1(VALU_DEP_3)
	v_add_co_ci_u32_e32 v11, vcc_lo, v6, v9, vcc_lo
	v_xor_b32_e32 v12, v5, v13
	v_mul_hi_u32 v14, v10, v8
	s_delay_alu instid0(VALU_DEP_3) | instskip(NEXT) | instid1(VALU_DEP_3)
	v_mad_u64_u32 v[3:4], null, v10, v11, 0
	v_mad_u64_u32 v[5:6], null, v12, v8, 0
	;; [unrolled: 1-line block ×3, first 2 shown]
	s_delay_alu instid0(VALU_DEP_3) | instskip(NEXT) | instid1(VALU_DEP_4)
	v_add_co_u32 v3, vcc_lo, v14, v3
	v_add_co_ci_u32_e32 v4, vcc_lo, 0, v4, vcc_lo
	s_delay_alu instid0(VALU_DEP_2) | instskip(NEXT) | instid1(VALU_DEP_2)
	v_add_co_u32 v3, vcc_lo, v3, v5
	v_add_co_ci_u32_e32 v3, vcc_lo, v4, v6, vcc_lo
	v_add_co_ci_u32_e32 v4, vcc_lo, 0, v9, vcc_lo
	s_delay_alu instid0(VALU_DEP_2) | instskip(NEXT) | instid1(VALU_DEP_2)
	v_add_co_u32 v5, vcc_lo, v3, v8
	v_add_co_ci_u32_e32 v6, vcc_lo, 0, v4, vcc_lo
	s_delay_alu instid0(VALU_DEP_2) | instskip(SKIP_1) | instid1(VALU_DEP_3)
	v_mul_lo_u32 v8, s25, v5
	v_mad_u64_u32 v[3:4], null, s24, v5, 0
	v_mul_lo_u32 v6, s24, v6
	s_delay_alu instid0(VALU_DEP_2) | instskip(NEXT) | instid1(VALU_DEP_2)
	v_sub_co_u32 v3, vcc_lo, v10, v3
	v_add3_u32 v4, v4, v6, v8
	v_add_co_u32 v8, s2, v5, 2
	s_delay_alu instid0(VALU_DEP_2) | instskip(NEXT) | instid1(VALU_DEP_1)
	v_sub_nc_u32_e32 v6, v12, v4
	v_subrev_co_ci_u32_e64 v6, s2, s25, v6, vcc_lo
	v_sub_co_u32 v9, s2, v3, s24
	v_sub_co_ci_u32_e32 v4, vcc_lo, v12, v4, vcc_lo
	s_delay_alu instid0(VALU_DEP_3) | instskip(NEXT) | instid1(VALU_DEP_3)
	v_subrev_co_ci_u32_e64 v6, s2, 0, v6, s2
	v_cmp_le_u32_e32 vcc_lo, s24, v9
	v_cndmask_b32_e64 v9, 0, -1, vcc_lo
	s_delay_alu instid0(VALU_DEP_3)
	v_cmp_le_u32_e32 vcc_lo, s25, v6
	v_cndmask_b32_e64 v10, 0, -1, vcc_lo
	v_cmp_le_u32_e32 vcc_lo, s24, v3
	v_cndmask_b32_e64 v3, 0, -1, vcc_lo
	;; [unrolled: 2-line block ×3, first 2 shown]
	v_cmp_eq_u32_e32 vcc_lo, s25, v6
	v_cndmask_b32_e32 v6, v10, v9, vcc_lo
	v_add_co_u32 v9, vcc_lo, v5, 1
	v_cmp_eq_u32_e32 vcc_lo, s25, v4
	v_cndmask_b32_e32 v3, v11, v3, vcc_lo
	s_delay_alu instid0(VALU_DEP_4) | instskip(NEXT) | instid1(VALU_DEP_4)
	v_cmp_ne_u32_e32 vcc_lo, 0, v6
	v_cndmask_b32_e32 v4, v9, v8, vcc_lo
	s_delay_alu instid0(VALU_DEP_3) | instskip(NEXT) | instid1(VALU_DEP_2)
	v_cmp_ne_u32_e32 vcc_lo, 0, v3
	v_cndmask_b32_e32 v3, v5, v4, vcc_lo
	v_xor_b32_e32 v4, s22, v13
	s_delay_alu instid0(VALU_DEP_1) | instskip(NEXT) | instid1(VALU_DEP_1)
	v_xor_b32_e32 v3, v3, v4
	v_sub_co_u32 v8, vcc_lo, v3, v4
                                        ; implicit-def: $vgpr4_vgpr5
.LBB8_18:                               ;   in Loop: Header=BB8_12 Depth=1
	s_and_not1_saveexec_b32 s2, s3
; %bb.19:                               ;   in Loop: Header=BB8_12 Depth=1
	s_delay_alu instid0(VALU_DEP_4) | instskip(NEXT) | instid1(VALU_DEP_1)
	v_mul_hi_u32 v3, v4, v35
	v_mul_lo_u32 v5, v3, s37
	s_delay_alu instid0(VALU_DEP_1) | instskip(NEXT) | instid1(VALU_DEP_1)
	v_sub_nc_u32_e32 v4, v4, v5
	v_subrev_nc_u32_e32 v6, s37, v4
	v_cmp_le_u32_e32 vcc_lo, s37, v4
	s_delay_alu instid0(VALU_DEP_2) | instskip(NEXT) | instid1(VALU_DEP_1)
	v_dual_cndmask_b32 v4, v4, v6 :: v_dual_add_nc_u32 v5, 1, v3
	v_cndmask_b32_e32 v3, v3, v5, vcc_lo
	s_delay_alu instid0(VALU_DEP_2) | instskip(NEXT) | instid1(VALU_DEP_2)
	v_cmp_le_u32_e32 vcc_lo, s37, v4
	v_add_nc_u32_e32 v5, 1, v3
	s_delay_alu instid0(VALU_DEP_1)
	v_cndmask_b32_e32 v8, v3, v5, vcc_lo
; %bb.20:                               ;   in Loop: Header=BB8_12 Depth=1
	s_or_b32 exec_lo, exec_lo, s2
	v_add_co_u32 v3, vcc_lo, v1, 1
	v_add_co_ci_u32_e32 v0, vcc_lo, 0, v0, vcc_lo
                                        ; implicit-def: $vgpr9_vgpr10
	s_mov_b32 s2, exec_lo
	s_delay_alu instid0(VALU_DEP_2) | instskip(SKIP_1) | instid1(VALU_DEP_3)
	v_mul_lo_u32 v6, v3, s45
	v_mad_u64_u32 v[4:5], null, v3, s41, -1
	v_mul_lo_u32 v0, v0, s41
	s_delay_alu instid0(VALU_DEP_1) | instskip(NEXT) | instid1(VALU_DEP_1)
	v_add3_u32 v5, v0, v5, v6
	v_or_b32_e32 v3, s17, v5
	s_delay_alu instid0(VALU_DEP_1)
	v_cmpx_ne_u64_e32 0, v[2:3]
	s_xor_b32 s3, exec_lo, s2
	s_cbranch_execnz .LBB8_23
; %bb.21:                               ;   in Loop: Header=BB8_12 Depth=1
	s_and_not1_saveexec_b32 s2, s3
	s_cbranch_execnz .LBB8_24
.LBB8_22:                               ;   in Loop: Header=BB8_12 Depth=1
	s_or_b32 exec_lo, exec_lo, s2
	s_and_saveexec_b32 s48, s0
	s_cbranch_execz .LBB8_11
	s_branch .LBB8_25
.LBB8_23:                               ;   in Loop: Header=BB8_12 Depth=1
	s_add_u32 s24, s37, s17
	s_mov_b32 s22, s17
	s_mov_b32 s23, s17
	s_addc_u32 s25, s17, s17
	s_delay_alu instid0(SALU_CYCLE_1) | instskip(NEXT) | instid1(SALU_CYCLE_1)
	s_xor_b64 s[24:25], s[24:25], s[22:23]
	v_cvt_f32_u32_e32 v0, s24
	v_cvt_f32_u32_e32 v3, s25
	s_sub_u32 s2, 0, s24
	s_subb_u32 s4, 0, s25
	s_delay_alu instid0(VALU_DEP_1) | instskip(NEXT) | instid1(VALU_DEP_1)
	v_fmac_f32_e32 v0, 0x4f800000, v3
	v_rcp_f32_e32 v0, v0
	s_waitcnt_depctr 0xfff
	v_mul_f32_e32 v0, 0x5f7ffffc, v0
	s_delay_alu instid0(VALU_DEP_1) | instskip(NEXT) | instid1(VALU_DEP_1)
	v_mul_f32_e32 v3, 0x2f800000, v0
	v_trunc_f32_e32 v3, v3
	s_delay_alu instid0(VALU_DEP_1) | instskip(SKIP_1) | instid1(VALU_DEP_2)
	v_fmac_f32_e32 v0, 0xcf800000, v3
	v_cvt_u32_f32_e32 v3, v3
	v_cvt_u32_f32_e32 v0, v0
	s_delay_alu instid0(VALU_DEP_2) | instskip(NEXT) | instid1(VALU_DEP_2)
	v_mul_lo_u32 v6, s2, v3
	v_mul_hi_u32 v9, s2, v0
	v_mul_lo_u32 v10, s4, v0
	s_delay_alu instid0(VALU_DEP_2) | instskip(SKIP_1) | instid1(VALU_DEP_2)
	v_add_nc_u32_e32 v6, v9, v6
	v_mul_lo_u32 v9, s2, v0
	v_add_nc_u32_e32 v6, v6, v10
	s_delay_alu instid0(VALU_DEP_2) | instskip(NEXT) | instid1(VALU_DEP_2)
	v_mul_hi_u32 v10, v0, v9
	v_mul_lo_u32 v11, v0, v6
	v_mul_hi_u32 v12, v0, v6
	v_mul_hi_u32 v13, v3, v9
	v_mul_lo_u32 v9, v3, v9
	v_mul_hi_u32 v14, v3, v6
	v_mul_lo_u32 v6, v3, v6
	v_add_co_u32 v10, vcc_lo, v10, v11
	v_add_co_ci_u32_e32 v11, vcc_lo, 0, v12, vcc_lo
	s_delay_alu instid0(VALU_DEP_2) | instskip(NEXT) | instid1(VALU_DEP_2)
	v_add_co_u32 v9, vcc_lo, v10, v9
	v_add_co_ci_u32_e32 v9, vcc_lo, v11, v13, vcc_lo
	v_add_co_ci_u32_e32 v10, vcc_lo, 0, v14, vcc_lo
	v_ashrrev_i32_e32 v13, 31, v5
	s_delay_alu instid0(VALU_DEP_3) | instskip(NEXT) | instid1(VALU_DEP_3)
	v_add_co_u32 v6, vcc_lo, v9, v6
	v_add_co_ci_u32_e32 v9, vcc_lo, 0, v10, vcc_lo
	s_delay_alu instid0(VALU_DEP_2) | instskip(NEXT) | instid1(VALU_DEP_2)
	v_add_co_u32 v0, vcc_lo, v0, v6
	v_add_co_ci_u32_e32 v3, vcc_lo, v3, v9, vcc_lo
	s_delay_alu instid0(VALU_DEP_2) | instskip(SKIP_1) | instid1(VALU_DEP_3)
	v_mul_hi_u32 v6, s2, v0
	v_mul_lo_u32 v10, s4, v0
	v_mul_lo_u32 v9, s2, v3
	s_delay_alu instid0(VALU_DEP_1) | instskip(SKIP_1) | instid1(VALU_DEP_2)
	v_add_nc_u32_e32 v6, v6, v9
	v_mul_lo_u32 v9, s2, v0
	v_add_nc_u32_e32 v6, v6, v10
	s_delay_alu instid0(VALU_DEP_2) | instskip(NEXT) | instid1(VALU_DEP_2)
	v_mul_hi_u32 v10, v0, v9
	v_mul_lo_u32 v11, v0, v6
	v_mul_hi_u32 v12, v0, v6
	v_mul_hi_u32 v14, v3, v9
	v_mul_lo_u32 v9, v3, v9
	v_mul_hi_u32 v15, v3, v6
	v_mul_lo_u32 v6, v3, v6
	v_add_co_u32 v10, vcc_lo, v10, v11
	v_add_co_ci_u32_e32 v11, vcc_lo, 0, v12, vcc_lo
	s_delay_alu instid0(VALU_DEP_2) | instskip(NEXT) | instid1(VALU_DEP_2)
	v_add_co_u32 v9, vcc_lo, v10, v9
	v_add_co_ci_u32_e32 v9, vcc_lo, v11, v14, vcc_lo
	v_add_co_ci_u32_e32 v10, vcc_lo, 0, v15, vcc_lo
	v_add_co_u32 v4, vcc_lo, v4, v13
	v_add_co_ci_u32_e32 v5, vcc_lo, v5, v13, vcc_lo
	s_delay_alu instid0(VALU_DEP_4) | instskip(NEXT) | instid1(VALU_DEP_4)
	v_add_co_u32 v6, vcc_lo, v9, v6
	v_add_co_ci_u32_e32 v9, vcc_lo, 0, v10, vcc_lo
	s_delay_alu instid0(VALU_DEP_4) | instskip(NEXT) | instid1(VALU_DEP_3)
	v_xor_b32_e32 v11, v4, v13
	v_add_co_u32 v0, vcc_lo, v0, v6
	s_delay_alu instid0(VALU_DEP_3) | instskip(SKIP_1) | instid1(VALU_DEP_3)
	v_add_co_ci_u32_e32 v12, vcc_lo, v3, v9, vcc_lo
	v_xor_b32_e32 v14, v5, v13
	v_mul_hi_u32 v15, v11, v0
	s_delay_alu instid0(VALU_DEP_3) | instskip(NEXT) | instid1(VALU_DEP_3)
	v_mad_u64_u32 v[3:4], null, v11, v12, 0
	v_mad_u64_u32 v[5:6], null, v14, v0, 0
	;; [unrolled: 1-line block ×3, first 2 shown]
	s_delay_alu instid0(VALU_DEP_3) | instskip(NEXT) | instid1(VALU_DEP_4)
	v_add_co_u32 v0, vcc_lo, v15, v3
	v_add_co_ci_u32_e32 v3, vcc_lo, 0, v4, vcc_lo
	s_delay_alu instid0(VALU_DEP_2) | instskip(NEXT) | instid1(VALU_DEP_2)
	v_add_co_u32 v0, vcc_lo, v0, v5
	v_add_co_ci_u32_e32 v0, vcc_lo, v3, v6, vcc_lo
	v_add_co_ci_u32_e32 v3, vcc_lo, 0, v10, vcc_lo
	s_delay_alu instid0(VALU_DEP_2) | instskip(NEXT) | instid1(VALU_DEP_2)
	v_add_co_u32 v0, vcc_lo, v0, v9
	v_add_co_ci_u32_e32 v5, vcc_lo, 0, v3, vcc_lo
	s_delay_alu instid0(VALU_DEP_2) | instskip(SKIP_1) | instid1(VALU_DEP_3)
	v_mul_lo_u32 v6, s25, v0
	v_mad_u64_u32 v[3:4], null, s24, v0, 0
	v_mul_lo_u32 v5, s24, v5
	s_delay_alu instid0(VALU_DEP_2) | instskip(NEXT) | instid1(VALU_DEP_2)
	v_sub_co_u32 v3, vcc_lo, v11, v3
	v_add3_u32 v4, v4, v5, v6
	v_add_co_u32 v6, s2, v0, 2
	s_delay_alu instid0(VALU_DEP_2) | instskip(NEXT) | instid1(VALU_DEP_1)
	v_sub_nc_u32_e32 v5, v14, v4
	v_subrev_co_ci_u32_e64 v5, s2, s25, v5, vcc_lo
	v_sub_co_u32 v9, s2, v3, s24
	v_sub_co_ci_u32_e32 v4, vcc_lo, v14, v4, vcc_lo
	s_delay_alu instid0(VALU_DEP_3) | instskip(NEXT) | instid1(VALU_DEP_3)
	v_subrev_co_ci_u32_e64 v5, s2, 0, v5, s2
	v_cmp_le_u32_e32 vcc_lo, s24, v9
	v_cndmask_b32_e64 v9, 0, -1, vcc_lo
	s_delay_alu instid0(VALU_DEP_3)
	v_cmp_le_u32_e32 vcc_lo, s25, v5
	v_cndmask_b32_e64 v10, 0, -1, vcc_lo
	v_cmp_le_u32_e32 vcc_lo, s24, v3
	v_cndmask_b32_e64 v3, 0, -1, vcc_lo
	;; [unrolled: 2-line block ×3, first 2 shown]
	v_cmp_eq_u32_e32 vcc_lo, s25, v5
	v_cndmask_b32_e32 v5, v10, v9, vcc_lo
	v_add_co_u32 v9, vcc_lo, v0, 1
	v_cmp_eq_u32_e32 vcc_lo, s25, v4
	v_cndmask_b32_e32 v3, v11, v3, vcc_lo
	s_delay_alu instid0(VALU_DEP_4) | instskip(NEXT) | instid1(VALU_DEP_4)
	v_cmp_ne_u32_e32 vcc_lo, 0, v5
	v_cndmask_b32_e32 v4, v9, v6, vcc_lo
	s_delay_alu instid0(VALU_DEP_3) | instskip(SKIP_1) | instid1(VALU_DEP_3)
	v_cmp_ne_u32_e32 vcc_lo, 0, v3
	v_xor_b32_e32 v3, s22, v13
	v_cndmask_b32_e32 v0, v0, v4, vcc_lo
                                        ; implicit-def: $vgpr4_vgpr5
	s_delay_alu instid0(VALU_DEP_1) | instskip(NEXT) | instid1(VALU_DEP_1)
	v_xor_b32_e32 v0, v0, v3
	v_sub_co_u32 v9, vcc_lo, v0, v3
	s_and_not1_saveexec_b32 s2, s3
	s_cbranch_execz .LBB8_22
.LBB8_24:                               ;   in Loop: Header=BB8_12 Depth=1
	v_mul_hi_u32 v0, v4, v35
	s_delay_alu instid0(VALU_DEP_1) | instskip(NEXT) | instid1(VALU_DEP_1)
	v_mul_lo_u32 v3, v0, s37
	v_sub_nc_u32_e32 v3, v4, v3
	s_delay_alu instid0(VALU_DEP_1) | instskip(SKIP_1) | instid1(VALU_DEP_2)
	v_subrev_nc_u32_e32 v5, s37, v3
	v_cmp_le_u32_e32 vcc_lo, s37, v3
	v_dual_cndmask_b32 v3, v3, v5 :: v_dual_add_nc_u32 v4, 1, v0
	s_delay_alu instid0(VALU_DEP_1) | instskip(NEXT) | instid1(VALU_DEP_2)
	v_cndmask_b32_e32 v0, v0, v4, vcc_lo
	v_cmp_le_u32_e32 vcc_lo, s37, v3
	s_delay_alu instid0(VALU_DEP_2) | instskip(NEXT) | instid1(VALU_DEP_1)
	v_add_nc_u32_e32 v4, 1, v0
	v_cndmask_b32_e32 v9, v0, v4, vcc_lo
	s_or_b32 exec_lo, exec_lo, s2
	s_and_saveexec_b32 s48, s0
	s_cbranch_execz .LBB8_11
.LBB8_25:                               ;   in Loop: Header=BB8_12 Depth=1
	v_mul_lo_u32 v10, v1, s6
	v_mad_u64_u32 v[4:5], null, v7, s41, v[8:9]
	v_add_nc_u32_e32 v36, 1, v9
	s_mov_b32 s49, 0
	s_delay_alu instid0(VALU_DEP_3) | instskip(NEXT) | instid1(VALU_DEP_2)
	v_ashrrev_i32_e32 v11, 31, v10
	v_cmp_gt_i32_e64 s2, v36, v4
	s_delay_alu instid0(VALU_DEP_2) | instskip(NEXT) | instid1(VALU_DEP_1)
	v_lshlrev_b64 v[9:10], 3, v[10:11]
	v_mad_u64_u32 v[5:6], null, s8, v7, v[8:9]
	v_add_co_u32 v37, vcc_lo, s7, v9
	s_delay_alu instid0(VALU_DEP_3)
	v_add_co_ci_u32_e32 v38, vcc_lo, s36, v10, vcc_lo
	v_mov_b32_e32 v6, v33
	s_branch .LBB8_27
.LBB8_26:                               ;   in Loop: Header=BB8_27 Depth=2
	v_add_nc_u32_e32 v6, s44, v6
	s_delay_alu instid0(VALU_DEP_1) | instskip(SKIP_1) | instid1(SALU_CYCLE_1)
	v_cmp_le_i32_e32 vcc_lo, s6, v6
	s_or_b32 s49, vcc_lo, s49
	s_and_not1_b32 exec_lo, exec_lo, s49
	s_cbranch_execz .LBB8_11
.LBB8_27:                               ;   Parent Loop BB8_12 Depth=1
                                        ; =>  This Loop Header: Depth=2
                                        ;       Child Loop BB8_42 Depth 3
                                        ;         Child Loop BB8_54 Depth 4
                                        ;           Child Loop BB8_69 Depth 5
	v_or_b32_e64 v3, 0, s33
	v_mov_b32_e32 v7, v2
                                        ; implicit-def: $vgpr10_vgpr11
	s_mov_b32 s3, exec_lo
	s_delay_alu instid0(VALU_DEP_2)
	v_cmpx_ne_u64_e32 0, v[2:3]
	s_xor_b32 s4, exec_lo, s3
	s_cbranch_execz .LBB8_29
; %bb.28:                               ;   in Loop: Header=BB8_27 Depth=2
	s_add_u32 s24, s40, s33
	s_mov_b32 s22, s33
	s_mov_b32 s23, s33
	s_addc_u32 s25, s33, s33
	s_delay_alu instid0(SALU_CYCLE_1) | instskip(NEXT) | instid1(SALU_CYCLE_1)
	s_xor_b64 s[24:25], s[24:25], s[22:23]
	v_cvt_f32_u32_e32 v0, s24
	v_cvt_f32_u32_e32 v3, s25
	s_sub_u32 s3, 0, s24
	s_subb_u32 s21, 0, s25
	s_delay_alu instid0(VALU_DEP_1) | instskip(NEXT) | instid1(VALU_DEP_1)
	v_fmac_f32_e32 v0, 0x4f800000, v3
	v_rcp_f32_e32 v0, v0
	s_waitcnt_depctr 0xfff
	v_mul_f32_e32 v0, 0x5f7ffffc, v0
	s_delay_alu instid0(VALU_DEP_1) | instskip(NEXT) | instid1(VALU_DEP_1)
	v_mul_f32_e32 v3, 0x2f800000, v0
	v_trunc_f32_e32 v3, v3
	s_delay_alu instid0(VALU_DEP_1) | instskip(SKIP_1) | instid1(VALU_DEP_2)
	v_fmac_f32_e32 v0, 0xcf800000, v3
	v_cvt_u32_f32_e32 v3, v3
	v_cvt_u32_f32_e32 v0, v0
	s_delay_alu instid0(VALU_DEP_2) | instskip(NEXT) | instid1(VALU_DEP_2)
	v_mul_lo_u32 v8, s3, v3
	v_mul_hi_u32 v9, s3, v0
	v_mul_lo_u32 v10, s21, v0
	s_delay_alu instid0(VALU_DEP_2) | instskip(SKIP_1) | instid1(VALU_DEP_2)
	v_add_nc_u32_e32 v8, v9, v8
	v_mul_lo_u32 v9, s3, v0
	v_add_nc_u32_e32 v8, v8, v10
	s_delay_alu instid0(VALU_DEP_2) | instskip(NEXT) | instid1(VALU_DEP_2)
	v_mul_hi_u32 v10, v0, v9
	v_mul_lo_u32 v11, v0, v8
	v_mul_hi_u32 v12, v0, v8
	v_mul_hi_u32 v13, v3, v9
	v_mul_lo_u32 v9, v3, v9
	v_mul_hi_u32 v14, v3, v8
	v_mul_lo_u32 v8, v3, v8
	v_add_co_u32 v10, vcc_lo, v10, v11
	v_add_co_ci_u32_e32 v11, vcc_lo, 0, v12, vcc_lo
	s_delay_alu instid0(VALU_DEP_2) | instskip(NEXT) | instid1(VALU_DEP_2)
	v_add_co_u32 v9, vcc_lo, v10, v9
	v_add_co_ci_u32_e32 v9, vcc_lo, v11, v13, vcc_lo
	v_add_co_ci_u32_e32 v10, vcc_lo, 0, v14, vcc_lo
	v_ashrrev_i32_e64 v14, 31, 0
	s_delay_alu instid0(VALU_DEP_3) | instskip(NEXT) | instid1(VALU_DEP_3)
	v_add_co_u32 v8, vcc_lo, v9, v8
	v_add_co_ci_u32_e32 v9, vcc_lo, 0, v10, vcc_lo
	s_delay_alu instid0(VALU_DEP_2) | instskip(NEXT) | instid1(VALU_DEP_2)
	v_add_co_u32 v0, vcc_lo, v0, v8
	v_add_co_ci_u32_e32 v3, vcc_lo, v3, v9, vcc_lo
	s_delay_alu instid0(VALU_DEP_2) | instskip(SKIP_1) | instid1(VALU_DEP_3)
	v_mul_hi_u32 v8, s3, v0
	v_mul_lo_u32 v10, s21, v0
	v_mul_lo_u32 v9, s3, v3
	s_delay_alu instid0(VALU_DEP_1) | instskip(SKIP_1) | instid1(VALU_DEP_2)
	v_add_nc_u32_e32 v8, v8, v9
	v_mul_lo_u32 v9, s3, v0
	v_add_nc_u32_e32 v8, v8, v10
	s_delay_alu instid0(VALU_DEP_2) | instskip(NEXT) | instid1(VALU_DEP_2)
	v_mul_hi_u32 v10, v0, v9
	v_mul_lo_u32 v11, v0, v8
	v_mul_hi_u32 v12, v0, v8
	v_mul_hi_u32 v13, v3, v9
	v_mul_lo_u32 v9, v3, v9
	v_mul_hi_u32 v15, v3, v8
	v_mul_lo_u32 v8, v3, v8
	v_add_co_u32 v10, vcc_lo, v10, v11
	v_add_co_ci_u32_e32 v11, vcc_lo, 0, v12, vcc_lo
	s_delay_alu instid0(VALU_DEP_2) | instskip(NEXT) | instid1(VALU_DEP_2)
	v_add_co_u32 v9, vcc_lo, v10, v9
	v_add_co_ci_u32_e32 v9, vcc_lo, v11, v13, vcc_lo
	v_add_co_ci_u32_e32 v10, vcc_lo, 0, v15, vcc_lo
	v_add_co_u32 v11, vcc_lo, v6, v14
	v_add_co_ci_u32_e32 v12, vcc_lo, 0, v14, vcc_lo
	s_delay_alu instid0(VALU_DEP_4) | instskip(NEXT) | instid1(VALU_DEP_4)
	v_add_co_u32 v8, vcc_lo, v9, v8
	v_add_co_ci_u32_e32 v9, vcc_lo, 0, v10, vcc_lo
	s_delay_alu instid0(VALU_DEP_4) | instskip(NEXT) | instid1(VALU_DEP_3)
	v_xor_b32_e32 v15, v11, v14
	v_add_co_u32 v0, vcc_lo, v0, v8
	s_delay_alu instid0(VALU_DEP_3) | instskip(SKIP_1) | instid1(VALU_DEP_3)
	v_add_co_ci_u32_e32 v3, vcc_lo, v3, v9, vcc_lo
	v_xor_b32_e32 v16, v12, v14
	v_mul_hi_u32 v17, v15, v0
	s_delay_alu instid0(VALU_DEP_3) | instskip(NEXT) | instid1(VALU_DEP_3)
	v_mad_u64_u32 v[8:9], null, v15, v3, 0
	v_mad_u64_u32 v[10:11], null, v16, v0, 0
	;; [unrolled: 1-line block ×3, first 2 shown]
	s_delay_alu instid0(VALU_DEP_3) | instskip(NEXT) | instid1(VALU_DEP_4)
	v_add_co_u32 v0, vcc_lo, v17, v8
	v_add_co_ci_u32_e32 v3, vcc_lo, 0, v9, vcc_lo
	s_delay_alu instid0(VALU_DEP_2) | instskip(NEXT) | instid1(VALU_DEP_2)
	v_add_co_u32 v0, vcc_lo, v0, v10
	v_add_co_ci_u32_e32 v0, vcc_lo, v3, v11, vcc_lo
	v_add_co_ci_u32_e32 v3, vcc_lo, 0, v13, vcc_lo
	s_delay_alu instid0(VALU_DEP_2) | instskip(NEXT) | instid1(VALU_DEP_2)
	v_add_co_u32 v0, vcc_lo, v0, v12
	v_add_co_ci_u32_e32 v3, vcc_lo, 0, v3, vcc_lo
	s_delay_alu instid0(VALU_DEP_2) | instskip(SKIP_1) | instid1(VALU_DEP_3)
	v_mul_lo_u32 v10, s25, v0
	v_mad_u64_u32 v[8:9], null, s24, v0, 0
	v_mul_lo_u32 v11, s24, v3
	s_delay_alu instid0(VALU_DEP_2) | instskip(NEXT) | instid1(VALU_DEP_2)
	v_sub_co_u32 v8, vcc_lo, v15, v8
	v_add3_u32 v9, v9, v11, v10
	s_delay_alu instid0(VALU_DEP_1) | instskip(NEXT) | instid1(VALU_DEP_1)
	v_sub_nc_u32_e32 v10, v16, v9
	v_subrev_co_ci_u32_e64 v10, s3, s25, v10, vcc_lo
	v_add_co_u32 v11, s3, v0, 2
	s_delay_alu instid0(VALU_DEP_1) | instskip(SKIP_3) | instid1(VALU_DEP_3)
	v_add_co_ci_u32_e64 v12, s3, 0, v3, s3
	v_sub_co_u32 v13, s3, v8, s24
	v_sub_co_ci_u32_e32 v9, vcc_lo, v16, v9, vcc_lo
	v_subrev_co_ci_u32_e64 v10, s3, 0, v10, s3
	v_cmp_le_u32_e32 vcc_lo, s24, v13
	s_delay_alu instid0(VALU_DEP_3) | instskip(SKIP_1) | instid1(VALU_DEP_4)
	v_cmp_eq_u32_e64 s3, s25, v9
	v_cndmask_b32_e64 v13, 0, -1, vcc_lo
	v_cmp_le_u32_e32 vcc_lo, s25, v10
	v_cndmask_b32_e64 v15, 0, -1, vcc_lo
	v_cmp_le_u32_e32 vcc_lo, s24, v8
	;; [unrolled: 2-line block ×3, first 2 shown]
	v_cndmask_b32_e64 v16, 0, -1, vcc_lo
	v_cmp_eq_u32_e32 vcc_lo, s25, v10
	s_delay_alu instid0(VALU_DEP_2) | instskip(SKIP_3) | instid1(VALU_DEP_3)
	v_cndmask_b32_e64 v8, v16, v8, s3
	v_cndmask_b32_e32 v10, v15, v13, vcc_lo
	v_add_co_u32 v13, vcc_lo, v0, 1
	v_add_co_ci_u32_e32 v15, vcc_lo, 0, v3, vcc_lo
	v_cmp_ne_u32_e32 vcc_lo, 0, v10
	s_delay_alu instid0(VALU_DEP_2) | instskip(SKIP_2) | instid1(VALU_DEP_3)
	v_dual_cndmask_b32 v9, v15, v12 :: v_dual_cndmask_b32 v10, v13, v11
	v_cmp_ne_u32_e32 vcc_lo, 0, v8
	v_xor_b32_e32 v8, s22, v14
	v_dual_cndmask_b32 v0, v0, v10 :: v_dual_cndmask_b32 v3, v3, v9
	v_xor_b32_e32 v9, s23, v14
	s_delay_alu instid0(VALU_DEP_2) | instskip(NEXT) | instid1(VALU_DEP_2)
	v_xor_b32_e32 v0, v0, v8
	v_xor_b32_e32 v3, v3, v9
	s_delay_alu instid0(VALU_DEP_2) | instskip(NEXT) | instid1(VALU_DEP_2)
	v_sub_co_u32 v10, vcc_lo, v0, v8
	v_sub_co_ci_u32_e32 v11, vcc_lo, v3, v9, vcc_lo
.LBB8_29:                               ;   in Loop: Header=BB8_27 Depth=2
	s_or_saveexec_b32 s3, s4
	v_cvt_f32_u32_e32 v0, s40
	s_xor_b32 exec_lo, exec_lo, s3
	s_cbranch_execz .LBB8_31
; %bb.30:                               ;   in Loop: Header=BB8_27 Depth=2
	s_delay_alu instid0(VALU_DEP_1) | instskip(SKIP_4) | instid1(VALU_DEP_1)
	v_rcp_iflag_f32_e32 v3, v0
	s_sub_i32 s4, 0, s40
	v_mov_b32_e32 v11, v2
	s_waitcnt_depctr 0xfff
	v_mul_f32_e32 v3, 0x4f7ffffe, v3
	v_cvt_u32_f32_e32 v3, v3
	s_delay_alu instid0(VALU_DEP_1) | instskip(NEXT) | instid1(VALU_DEP_1)
	v_mul_lo_u32 v8, s4, v3
	v_mul_hi_u32 v8, v3, v8
	s_delay_alu instid0(VALU_DEP_1) | instskip(NEXT) | instid1(VALU_DEP_1)
	v_add_nc_u32_e32 v3, v3, v8
	v_mul_hi_u32 v3, v6, v3
	s_delay_alu instid0(VALU_DEP_1) | instskip(SKIP_1) | instid1(VALU_DEP_2)
	v_mul_lo_u32 v8, v3, s40
	v_add_nc_u32_e32 v9, 1, v3
	v_sub_nc_u32_e32 v8, v6, v8
	s_delay_alu instid0(VALU_DEP_1) | instskip(SKIP_1) | instid1(VALU_DEP_2)
	v_subrev_nc_u32_e32 v10, s40, v8
	v_cmp_le_u32_e32 vcc_lo, s40, v8
	v_dual_cndmask_b32 v8, v8, v10 :: v_dual_cndmask_b32 v3, v3, v9
	s_delay_alu instid0(VALU_DEP_1) | instskip(NEXT) | instid1(VALU_DEP_2)
	v_cmp_le_u32_e32 vcc_lo, s40, v8
	v_add_nc_u32_e32 v9, 1, v3
	s_delay_alu instid0(VALU_DEP_1)
	v_cndmask_b32_e32 v10, v3, v9, vcc_lo
.LBB8_31:                               ;   in Loop: Header=BB8_27 Depth=2
	s_or_b32 exec_lo, exec_lo, s3
	v_mul_lo_u32 v3, v11, s40
	s_delay_alu instid0(VALU_DEP_2) | instskip(SKIP_2) | instid1(VALU_DEP_1)
	v_mul_lo_u32 v11, v10, s33
	v_mad_u64_u32 v[8:9], null, v10, s40, 0
                                        ; implicit-def: $vgpr14_vgpr15
	s_mov_b32 s3, exec_lo
	v_add3_u32 v3, v9, v11, v3
	s_delay_alu instid0(VALU_DEP_2) | instskip(NEXT) | instid1(VALU_DEP_2)
	v_sub_co_u32 v11, vcc_lo, v6, v8
	v_sub_co_ci_u32_e32 v3, vcc_lo, 0, v3, vcc_lo
	s_delay_alu instid0(VALU_DEP_2) | instskip(SKIP_1) | instid1(VALU_DEP_3)
	v_mul_lo_u32 v12, v11, s46
	v_mad_u64_u32 v[8:9], null, v11, s42, 0
	v_mul_lo_u32 v3, v3, s42
	s_delay_alu instid0(VALU_DEP_1) | instskip(NEXT) | instid1(VALU_DEP_1)
	v_add3_u32 v9, v9, v12, v3
	v_or_b32_e32 v3, s33, v9
	s_delay_alu instid0(VALU_DEP_1)
	v_cmpx_ne_u64_e32 0, v[2:3]
	s_xor_b32 s4, exec_lo, s3
	s_cbranch_execz .LBB8_33
; %bb.32:                               ;   in Loop: Header=BB8_27 Depth=2
	s_add_u32 s24, s40, s33
	s_mov_b32 s22, s33
	s_mov_b32 s23, s33
	s_addc_u32 s25, s33, s33
	s_delay_alu instid0(SALU_CYCLE_1) | instskip(NEXT) | instid1(SALU_CYCLE_1)
	s_xor_b64 s[24:25], s[24:25], s[22:23]
	v_cvt_f32_u32_e32 v3, s24
	v_cvt_f32_u32_e32 v11, s25
	s_sub_u32 s3, 0, s24
	s_subb_u32 s21, 0, s25
	s_delay_alu instid0(VALU_DEP_1) | instskip(NEXT) | instid1(VALU_DEP_1)
	v_fmac_f32_e32 v3, 0x4f800000, v11
	v_rcp_f32_e32 v3, v3
	s_waitcnt_depctr 0xfff
	v_mul_f32_e32 v3, 0x5f7ffffc, v3
	s_delay_alu instid0(VALU_DEP_1) | instskip(NEXT) | instid1(VALU_DEP_1)
	v_mul_f32_e32 v11, 0x2f800000, v3
	v_trunc_f32_e32 v11, v11
	s_delay_alu instid0(VALU_DEP_1) | instskip(SKIP_1) | instid1(VALU_DEP_2)
	v_fmac_f32_e32 v3, 0xcf800000, v11
	v_cvt_u32_f32_e32 v11, v11
	v_cvt_u32_f32_e32 v3, v3
	s_delay_alu instid0(VALU_DEP_2) | instskip(NEXT) | instid1(VALU_DEP_2)
	v_mul_lo_u32 v12, s3, v11
	v_mul_hi_u32 v13, s3, v3
	v_mul_lo_u32 v14, s21, v3
	s_delay_alu instid0(VALU_DEP_2) | instskip(SKIP_1) | instid1(VALU_DEP_2)
	v_add_nc_u32_e32 v12, v13, v12
	v_mul_lo_u32 v13, s3, v3
	v_add_nc_u32_e32 v12, v12, v14
	s_delay_alu instid0(VALU_DEP_2) | instskip(NEXT) | instid1(VALU_DEP_2)
	v_mul_hi_u32 v14, v3, v13
	v_mul_lo_u32 v15, v3, v12
	v_mul_hi_u32 v16, v3, v12
	v_mul_hi_u32 v17, v11, v13
	v_mul_lo_u32 v13, v11, v13
	v_mul_hi_u32 v18, v11, v12
	v_mul_lo_u32 v12, v11, v12
	v_add_co_u32 v14, vcc_lo, v14, v15
	v_add_co_ci_u32_e32 v15, vcc_lo, 0, v16, vcc_lo
	s_delay_alu instid0(VALU_DEP_2) | instskip(NEXT) | instid1(VALU_DEP_2)
	v_add_co_u32 v13, vcc_lo, v14, v13
	v_add_co_ci_u32_e32 v13, vcc_lo, v15, v17, vcc_lo
	v_add_co_ci_u32_e32 v14, vcc_lo, 0, v18, vcc_lo
	v_ashrrev_i32_e32 v17, 31, v9
	s_delay_alu instid0(VALU_DEP_3) | instskip(NEXT) | instid1(VALU_DEP_3)
	v_add_co_u32 v12, vcc_lo, v13, v12
	v_add_co_ci_u32_e32 v13, vcc_lo, 0, v14, vcc_lo
	s_delay_alu instid0(VALU_DEP_2) | instskip(NEXT) | instid1(VALU_DEP_2)
	v_add_co_u32 v3, vcc_lo, v3, v12
	v_add_co_ci_u32_e32 v11, vcc_lo, v11, v13, vcc_lo
	s_delay_alu instid0(VALU_DEP_2) | instskip(SKIP_1) | instid1(VALU_DEP_3)
	v_mul_hi_u32 v12, s3, v3
	v_mul_lo_u32 v14, s21, v3
	v_mul_lo_u32 v13, s3, v11
	s_delay_alu instid0(VALU_DEP_1) | instskip(SKIP_1) | instid1(VALU_DEP_2)
	v_add_nc_u32_e32 v12, v12, v13
	v_mul_lo_u32 v13, s3, v3
	v_add_nc_u32_e32 v12, v12, v14
	s_delay_alu instid0(VALU_DEP_2) | instskip(NEXT) | instid1(VALU_DEP_2)
	v_mul_hi_u32 v14, v3, v13
	v_mul_lo_u32 v15, v3, v12
	v_mul_hi_u32 v16, v3, v12
	v_mul_hi_u32 v18, v11, v13
	v_mul_lo_u32 v13, v11, v13
	v_mul_hi_u32 v19, v11, v12
	v_mul_lo_u32 v12, v11, v12
	v_add_co_u32 v14, vcc_lo, v14, v15
	v_add_co_ci_u32_e32 v15, vcc_lo, 0, v16, vcc_lo
	s_delay_alu instid0(VALU_DEP_2) | instskip(NEXT) | instid1(VALU_DEP_2)
	v_add_co_u32 v13, vcc_lo, v14, v13
	v_add_co_ci_u32_e32 v13, vcc_lo, v15, v18, vcc_lo
	v_add_co_ci_u32_e32 v14, vcc_lo, 0, v19, vcc_lo
	v_add_co_u32 v8, vcc_lo, v8, v17
	v_add_co_ci_u32_e32 v9, vcc_lo, v9, v17, vcc_lo
	s_delay_alu instid0(VALU_DEP_4) | instskip(NEXT) | instid1(VALU_DEP_4)
	v_add_co_u32 v12, vcc_lo, v13, v12
	v_add_co_ci_u32_e32 v13, vcc_lo, 0, v14, vcc_lo
	s_delay_alu instid0(VALU_DEP_4) | instskip(NEXT) | instid1(VALU_DEP_3)
	v_xor_b32_e32 v15, v8, v17
	v_add_co_u32 v3, vcc_lo, v3, v12
	s_delay_alu instid0(VALU_DEP_3) | instskip(SKIP_1) | instid1(VALU_DEP_3)
	v_add_co_ci_u32_e32 v16, vcc_lo, v11, v13, vcc_lo
	v_xor_b32_e32 v18, v9, v17
	v_mul_hi_u32 v19, v15, v3
	s_delay_alu instid0(VALU_DEP_3) | instskip(NEXT) | instid1(VALU_DEP_3)
	v_mad_u64_u32 v[8:9], null, v15, v16, 0
	v_mad_u64_u32 v[11:12], null, v18, v3, 0
	;; [unrolled: 1-line block ×3, first 2 shown]
	s_delay_alu instid0(VALU_DEP_3) | instskip(NEXT) | instid1(VALU_DEP_4)
	v_add_co_u32 v3, vcc_lo, v19, v8
	v_add_co_ci_u32_e32 v8, vcc_lo, 0, v9, vcc_lo
	s_delay_alu instid0(VALU_DEP_2) | instskip(NEXT) | instid1(VALU_DEP_2)
	v_add_co_u32 v3, vcc_lo, v3, v11
	v_add_co_ci_u32_e32 v3, vcc_lo, v8, v12, vcc_lo
	v_add_co_ci_u32_e32 v8, vcc_lo, 0, v14, vcc_lo
	s_delay_alu instid0(VALU_DEP_2) | instskip(NEXT) | instid1(VALU_DEP_2)
	v_add_co_u32 v3, vcc_lo, v3, v13
	v_add_co_ci_u32_e32 v11, vcc_lo, 0, v8, vcc_lo
	s_delay_alu instid0(VALU_DEP_2) | instskip(SKIP_1) | instid1(VALU_DEP_3)
	v_mul_lo_u32 v12, s25, v3
	v_mad_u64_u32 v[8:9], null, s24, v3, 0
	v_mul_lo_u32 v11, s24, v11
	s_delay_alu instid0(VALU_DEP_2) | instskip(NEXT) | instid1(VALU_DEP_2)
	v_sub_co_u32 v8, vcc_lo, v15, v8
	v_add3_u32 v9, v9, v11, v12
	v_add_co_u32 v12, s3, v3, 2
	s_delay_alu instid0(VALU_DEP_2) | instskip(NEXT) | instid1(VALU_DEP_1)
	v_sub_nc_u32_e32 v11, v18, v9
	v_subrev_co_ci_u32_e64 v11, s3, s25, v11, vcc_lo
	v_sub_co_u32 v13, s3, v8, s24
	v_sub_co_ci_u32_e32 v9, vcc_lo, v18, v9, vcc_lo
	s_delay_alu instid0(VALU_DEP_3) | instskip(NEXT) | instid1(VALU_DEP_3)
	v_subrev_co_ci_u32_e64 v11, s3, 0, v11, s3
	v_cmp_le_u32_e32 vcc_lo, s24, v13
	v_cndmask_b32_e64 v13, 0, -1, vcc_lo
	s_delay_alu instid0(VALU_DEP_3)
	v_cmp_le_u32_e32 vcc_lo, s25, v11
	v_cndmask_b32_e64 v14, 0, -1, vcc_lo
	v_cmp_le_u32_e32 vcc_lo, s24, v8
	v_cndmask_b32_e64 v8, 0, -1, vcc_lo
	;; [unrolled: 2-line block ×3, first 2 shown]
	v_cmp_eq_u32_e32 vcc_lo, s25, v11
	v_cndmask_b32_e32 v11, v14, v13, vcc_lo
	v_add_co_u32 v13, vcc_lo, v3, 1
	v_cmp_eq_u32_e32 vcc_lo, s25, v9
	v_cndmask_b32_e32 v8, v15, v8, vcc_lo
	s_delay_alu instid0(VALU_DEP_4) | instskip(NEXT) | instid1(VALU_DEP_4)
	v_cmp_ne_u32_e32 vcc_lo, 0, v11
	v_cndmask_b32_e32 v9, v13, v12, vcc_lo
	s_delay_alu instid0(VALU_DEP_3) | instskip(SKIP_1) | instid1(VALU_DEP_3)
	v_cmp_ne_u32_e32 vcc_lo, 0, v8
	v_xor_b32_e32 v8, s22, v17
	v_cndmask_b32_e32 v3, v3, v9, vcc_lo
	s_delay_alu instid0(VALU_DEP_1) | instskip(NEXT) | instid1(VALU_DEP_1)
	v_xor_b32_e32 v3, v3, v8
	v_sub_co_u32 v14, vcc_lo, v3, v8
                                        ; implicit-def: $vgpr8_vgpr9
.LBB8_33:                               ;   in Loop: Header=BB8_27 Depth=2
	s_and_not1_saveexec_b32 s3, s4
	s_cbranch_execz .LBB8_35
; %bb.34:                               ;   in Loop: Header=BB8_27 Depth=2
	v_rcp_iflag_f32_e32 v3, v0
	s_sub_i32 s4, 0, s40
	s_waitcnt_depctr 0xfff
	v_mul_f32_e32 v3, 0x4f7ffffe, v3
	s_delay_alu instid0(VALU_DEP_1) | instskip(NEXT) | instid1(VALU_DEP_1)
	v_cvt_u32_f32_e32 v3, v3
	v_mul_lo_u32 v9, s4, v3
	s_delay_alu instid0(VALU_DEP_1) | instskip(NEXT) | instid1(VALU_DEP_1)
	v_mul_hi_u32 v9, v3, v9
	v_add_nc_u32_e32 v3, v3, v9
	s_delay_alu instid0(VALU_DEP_1) | instskip(NEXT) | instid1(VALU_DEP_1)
	v_mul_hi_u32 v3, v8, v3
	v_mul_lo_u32 v9, v3, s40
	s_delay_alu instid0(VALU_DEP_1) | instskip(SKIP_1) | instid1(VALU_DEP_2)
	v_sub_nc_u32_e32 v8, v8, v9
	v_add_nc_u32_e32 v9, 1, v3
	v_subrev_nc_u32_e32 v11, s40, v8
	v_cmp_le_u32_e32 vcc_lo, s40, v8
	s_delay_alu instid0(VALU_DEP_2) | instskip(NEXT) | instid1(VALU_DEP_1)
	v_dual_cndmask_b32 v8, v8, v11 :: v_dual_cndmask_b32 v3, v3, v9
	v_cmp_le_u32_e32 vcc_lo, s40, v8
	s_delay_alu instid0(VALU_DEP_2) | instskip(NEXT) | instid1(VALU_DEP_1)
	v_add_nc_u32_e32 v9, 1, v3
	v_cndmask_b32_e32 v14, v3, v9, vcc_lo
.LBB8_35:                               ;   in Loop: Header=BB8_27 Depth=2
	s_or_b32 exec_lo, exec_lo, s3
	v_add_co_u32 v3, s3, v6, 1
	s_delay_alu instid0(VALU_DEP_1) | instskip(SKIP_1) | instid1(VALU_DEP_2)
	v_add_co_ci_u32_e64 v8, null, 0, 0, s3
	s_mov_b32 s3, exec_lo
	v_mul_lo_u32 v11, v3, s46
	s_delay_alu instid0(VALU_DEP_2) | instskip(SKIP_1) | instid1(VALU_DEP_1)
	v_mul_lo_u32 v12, v8, s42
	v_mad_u64_u32 v[8:9], null, v3, s42, -1
	v_add3_u32 v9, v12, v9, v11
                                        ; implicit-def: $vgpr11_vgpr12
	s_delay_alu instid0(VALU_DEP_1) | instskip(NEXT) | instid1(VALU_DEP_1)
	v_or_b32_e32 v3, s33, v9
	v_cmpx_ne_u64_e32 0, v[2:3]
	s_xor_b32 s4, exec_lo, s3
	s_cbranch_execnz .LBB8_38
; %bb.36:                               ;   in Loop: Header=BB8_27 Depth=2
	s_and_not1_saveexec_b32 s3, s4
	s_cbranch_execnz .LBB8_39
.LBB8_37:                               ;   in Loop: Header=BB8_27 Depth=2
	s_or_b32 exec_lo, exec_lo, s3
	s_delay_alu instid0(SALU_CYCLE_1)
	s_and_not1_b32 vcc_lo, exec_lo, s1
	s_cbranch_vccnz .LBB8_26
	s_branch .LBB8_40
.LBB8_38:                               ;   in Loop: Header=BB8_27 Depth=2
	s_add_u32 s24, s40, s33
	s_mov_b32 s22, s33
	s_mov_b32 s23, s33
	s_addc_u32 s25, s33, s33
	s_delay_alu instid0(SALU_CYCLE_1) | instskip(NEXT) | instid1(SALU_CYCLE_1)
	s_xor_b64 s[24:25], s[24:25], s[22:23]
	v_cvt_f32_u32_e32 v0, s24
	v_cvt_f32_u32_e32 v3, s25
	s_sub_u32 s3, 0, s24
	s_subb_u32 s21, 0, s25
	s_delay_alu instid0(VALU_DEP_1) | instskip(NEXT) | instid1(VALU_DEP_1)
	v_fmac_f32_e32 v0, 0x4f800000, v3
	v_rcp_f32_e32 v0, v0
	s_waitcnt_depctr 0xfff
	v_mul_f32_e32 v0, 0x5f7ffffc, v0
	s_delay_alu instid0(VALU_DEP_1) | instskip(NEXT) | instid1(VALU_DEP_1)
	v_mul_f32_e32 v3, 0x2f800000, v0
	v_trunc_f32_e32 v3, v3
	s_delay_alu instid0(VALU_DEP_1) | instskip(SKIP_1) | instid1(VALU_DEP_2)
	v_fmac_f32_e32 v0, 0xcf800000, v3
	v_cvt_u32_f32_e32 v3, v3
	v_cvt_u32_f32_e32 v0, v0
	s_delay_alu instid0(VALU_DEP_2) | instskip(NEXT) | instid1(VALU_DEP_2)
	v_mul_lo_u32 v11, s3, v3
	v_mul_hi_u32 v12, s3, v0
	v_mul_lo_u32 v13, s21, v0
	s_delay_alu instid0(VALU_DEP_2) | instskip(SKIP_1) | instid1(VALU_DEP_2)
	v_add_nc_u32_e32 v11, v12, v11
	v_mul_lo_u32 v12, s3, v0
	v_add_nc_u32_e32 v11, v11, v13
	s_delay_alu instid0(VALU_DEP_2) | instskip(NEXT) | instid1(VALU_DEP_2)
	v_mul_hi_u32 v13, v0, v12
	v_mul_lo_u32 v15, v0, v11
	v_mul_hi_u32 v16, v0, v11
	v_mul_hi_u32 v17, v3, v12
	v_mul_lo_u32 v12, v3, v12
	v_mul_hi_u32 v18, v3, v11
	v_mul_lo_u32 v11, v3, v11
	v_add_co_u32 v13, vcc_lo, v13, v15
	v_add_co_ci_u32_e32 v15, vcc_lo, 0, v16, vcc_lo
	s_delay_alu instid0(VALU_DEP_2) | instskip(NEXT) | instid1(VALU_DEP_2)
	v_add_co_u32 v12, vcc_lo, v13, v12
	v_add_co_ci_u32_e32 v12, vcc_lo, v15, v17, vcc_lo
	v_add_co_ci_u32_e32 v13, vcc_lo, 0, v18, vcc_lo
	v_ashrrev_i32_e32 v17, 31, v9
	s_delay_alu instid0(VALU_DEP_3) | instskip(NEXT) | instid1(VALU_DEP_3)
	v_add_co_u32 v11, vcc_lo, v12, v11
	v_add_co_ci_u32_e32 v12, vcc_lo, 0, v13, vcc_lo
	s_delay_alu instid0(VALU_DEP_2) | instskip(NEXT) | instid1(VALU_DEP_2)
	v_add_co_u32 v0, vcc_lo, v0, v11
	v_add_co_ci_u32_e32 v3, vcc_lo, v3, v12, vcc_lo
	s_delay_alu instid0(VALU_DEP_2) | instskip(SKIP_1) | instid1(VALU_DEP_3)
	v_mul_hi_u32 v11, s3, v0
	v_mul_lo_u32 v13, s21, v0
	v_mul_lo_u32 v12, s3, v3
	s_delay_alu instid0(VALU_DEP_1) | instskip(SKIP_1) | instid1(VALU_DEP_2)
	v_add_nc_u32_e32 v11, v11, v12
	v_mul_lo_u32 v12, s3, v0
	v_add_nc_u32_e32 v11, v11, v13
	s_delay_alu instid0(VALU_DEP_2) | instskip(NEXT) | instid1(VALU_DEP_2)
	v_mul_hi_u32 v13, v0, v12
	v_mul_lo_u32 v15, v0, v11
	v_mul_hi_u32 v16, v0, v11
	v_mul_hi_u32 v18, v3, v12
	v_mul_lo_u32 v12, v3, v12
	v_mul_hi_u32 v19, v3, v11
	v_mul_lo_u32 v11, v3, v11
	v_add_co_u32 v13, vcc_lo, v13, v15
	v_add_co_ci_u32_e32 v15, vcc_lo, 0, v16, vcc_lo
	s_delay_alu instid0(VALU_DEP_2) | instskip(NEXT) | instid1(VALU_DEP_2)
	v_add_co_u32 v12, vcc_lo, v13, v12
	v_add_co_ci_u32_e32 v12, vcc_lo, v15, v18, vcc_lo
	v_add_co_ci_u32_e32 v13, vcc_lo, 0, v19, vcc_lo
	v_add_co_u32 v8, vcc_lo, v8, v17
	v_add_co_ci_u32_e32 v9, vcc_lo, v9, v17, vcc_lo
	s_delay_alu instid0(VALU_DEP_4) | instskip(NEXT) | instid1(VALU_DEP_4)
	v_add_co_u32 v11, vcc_lo, v12, v11
	v_add_co_ci_u32_e32 v12, vcc_lo, 0, v13, vcc_lo
	s_delay_alu instid0(VALU_DEP_4) | instskip(NEXT) | instid1(VALU_DEP_3)
	v_xor_b32_e32 v13, v8, v17
	v_add_co_u32 v0, vcc_lo, v0, v11
	s_delay_alu instid0(VALU_DEP_3) | instskip(SKIP_1) | instid1(VALU_DEP_3)
	v_add_co_ci_u32_e32 v3, vcc_lo, v3, v12, vcc_lo
	v_xor_b32_e32 v18, v9, v17
	v_mul_hi_u32 v19, v13, v0
	s_delay_alu instid0(VALU_DEP_3) | instskip(NEXT) | instid1(VALU_DEP_3)
	v_mad_u64_u32 v[8:9], null, v13, v3, 0
	v_mad_u64_u32 v[11:12], null, v18, v0, 0
	;; [unrolled: 1-line block ×3, first 2 shown]
	s_delay_alu instid0(VALU_DEP_3) | instskip(NEXT) | instid1(VALU_DEP_4)
	v_add_co_u32 v0, vcc_lo, v19, v8
	v_add_co_ci_u32_e32 v3, vcc_lo, 0, v9, vcc_lo
	s_delay_alu instid0(VALU_DEP_2) | instskip(NEXT) | instid1(VALU_DEP_2)
	v_add_co_u32 v0, vcc_lo, v0, v11
	v_add_co_ci_u32_e32 v0, vcc_lo, v3, v12, vcc_lo
	v_add_co_ci_u32_e32 v3, vcc_lo, 0, v16, vcc_lo
	s_delay_alu instid0(VALU_DEP_2) | instskip(NEXT) | instid1(VALU_DEP_2)
	v_add_co_u32 v0, vcc_lo, v0, v15
	v_add_co_ci_u32_e32 v3, vcc_lo, 0, v3, vcc_lo
	s_delay_alu instid0(VALU_DEP_2) | instskip(SKIP_1) | instid1(VALU_DEP_3)
	v_mul_lo_u32 v11, s25, v0
	v_mad_u64_u32 v[8:9], null, s24, v0, 0
	v_mul_lo_u32 v3, s24, v3
	s_delay_alu instid0(VALU_DEP_2) | instskip(NEXT) | instid1(VALU_DEP_2)
	v_sub_co_u32 v8, vcc_lo, v13, v8
	v_add3_u32 v3, v9, v3, v11
	v_add_co_u32 v11, s3, v0, 2
	s_delay_alu instid0(VALU_DEP_2) | instskip(NEXT) | instid1(VALU_DEP_1)
	v_sub_nc_u32_e32 v9, v18, v3
	v_subrev_co_ci_u32_e64 v9, s3, s25, v9, vcc_lo
	v_sub_co_u32 v12, s3, v8, s24
	v_sub_co_ci_u32_e32 v3, vcc_lo, v18, v3, vcc_lo
	s_delay_alu instid0(VALU_DEP_3) | instskip(NEXT) | instid1(VALU_DEP_3)
	v_subrev_co_ci_u32_e64 v9, s3, 0, v9, s3
	v_cmp_le_u32_e32 vcc_lo, s24, v12
	v_cndmask_b32_e64 v12, 0, -1, vcc_lo
	s_delay_alu instid0(VALU_DEP_3)
	v_cmp_le_u32_e32 vcc_lo, s25, v9
	v_cndmask_b32_e64 v13, 0, -1, vcc_lo
	v_cmp_le_u32_e32 vcc_lo, s24, v8
	v_cndmask_b32_e64 v8, 0, -1, vcc_lo
	;; [unrolled: 2-line block ×3, first 2 shown]
	v_cmp_eq_u32_e32 vcc_lo, s25, v9
	v_cndmask_b32_e32 v9, v13, v12, vcc_lo
	v_add_co_u32 v12, vcc_lo, v0, 1
	v_cmp_eq_u32_e32 vcc_lo, s25, v3
	v_cndmask_b32_e32 v3, v15, v8, vcc_lo
	s_delay_alu instid0(VALU_DEP_4) | instskip(NEXT) | instid1(VALU_DEP_4)
	v_cmp_ne_u32_e32 vcc_lo, 0, v9
	v_cndmask_b32_e32 v8, v12, v11, vcc_lo
	s_delay_alu instid0(VALU_DEP_3) | instskip(SKIP_1) | instid1(VALU_DEP_3)
	v_cmp_ne_u32_e32 vcc_lo, 0, v3
	v_xor_b32_e32 v3, s22, v17
	v_cndmask_b32_e32 v0, v0, v8, vcc_lo
                                        ; implicit-def: $vgpr8_vgpr9
	s_delay_alu instid0(VALU_DEP_1) | instskip(NEXT) | instid1(VALU_DEP_1)
	v_xor_b32_e32 v0, v0, v3
	v_sub_co_u32 v11, vcc_lo, v0, v3
                                        ; implicit-def: $vgpr0
	s_and_not1_saveexec_b32 s3, s4
	s_cbranch_execz .LBB8_37
.LBB8_39:                               ;   in Loop: Header=BB8_27 Depth=2
	v_rcp_iflag_f32_e32 v0, v0
	s_sub_i32 s4, 0, s40
	s_waitcnt_depctr 0xfff
	v_mul_f32_e32 v0, 0x4f7ffffe, v0
	s_delay_alu instid0(VALU_DEP_1) | instskip(NEXT) | instid1(VALU_DEP_1)
	v_cvt_u32_f32_e32 v0, v0
	v_mul_lo_u32 v3, s4, v0
	s_delay_alu instid0(VALU_DEP_1) | instskip(NEXT) | instid1(VALU_DEP_1)
	v_mul_hi_u32 v3, v0, v3
	v_add_nc_u32_e32 v0, v0, v3
	s_delay_alu instid0(VALU_DEP_1) | instskip(NEXT) | instid1(VALU_DEP_1)
	v_mul_hi_u32 v0, v8, v0
	v_mul_lo_u32 v3, v0, s40
	s_delay_alu instid0(VALU_DEP_1) | instskip(SKIP_1) | instid1(VALU_DEP_2)
	v_sub_nc_u32_e32 v3, v8, v3
	v_add_nc_u32_e32 v8, 1, v0
	v_subrev_nc_u32_e32 v9, s40, v3
	v_cmp_le_u32_e32 vcc_lo, s40, v3
	s_delay_alu instid0(VALU_DEP_2) | instskip(NEXT) | instid1(VALU_DEP_1)
	v_dual_cndmask_b32 v3, v3, v9 :: v_dual_cndmask_b32 v0, v0, v8
	v_cmp_le_u32_e32 vcc_lo, s40, v3
	s_delay_alu instid0(VALU_DEP_2) | instskip(NEXT) | instid1(VALU_DEP_1)
	v_add_nc_u32_e32 v8, 1, v0
	v_cndmask_b32_e32 v11, v0, v8, vcc_lo
	s_or_b32 exec_lo, exec_lo, s3
	s_delay_alu instid0(SALU_CYCLE_1)
	s_and_not1_b32 vcc_lo, exec_lo, s1
	s_cbranch_vccnz .LBB8_26
.LBB8_40:                               ;   in Loop: Header=BB8_27 Depth=2
	v_mad_u64_u32 v[8:9], null, v10, s42, v[14:15]
	v_lshlrev_b64 v[15:16], 3, v[6:7]
	v_add_nc_u32_e32 v39, 1, v11
	v_add_nc_u32_e32 v7, v5, v10
	s_mov_b64 s[22:23], s[14:15]
	s_mov_b32 s24, s16
	s_delay_alu instid0(VALU_DEP_4) | instskip(SKIP_2) | instid1(VALU_DEP_3)
	v_ashrrev_i32_e32 v9, 31, v8
	v_add_co_u32 v0, vcc_lo, v8, 1
	v_mad_u64_u32 v[12:13], null, s9, v7, v[14:15]
	v_add_co_ci_u32_e32 v3, vcc_lo, 0, v9, vcc_lo
	s_delay_alu instid0(VALU_DEP_3) | instskip(SKIP_1) | instid1(VALU_DEP_3)
	v_mul_lo_u32 v17, s33, v0
	v_mad_u64_u32 v[10:11], null, s40, v0, -1
	v_mul_lo_u32 v3, s40, v3
	v_add_co_u32 v13, vcc_lo, v37, v15
	v_add_co_ci_u32_e32 v14, vcc_lo, v38, v16, vcc_lo
	v_cmp_gt_i32_e64 s3, v39, v8
	s_delay_alu instid0(VALU_DEP_4)
	v_add3_u32 v11, v17, v11, v3
	s_branch .LBB8_42
.LBB8_41:                               ;   in Loop: Header=BB8_42 Depth=3
	s_or_b32 exec_lo, exec_lo, s21
	s_add_i32 s24, s24, 1
	s_add_u32 s22, s22, s18
	v_cmp_lt_i32_e32 vcc_lo, s24, v32
	s_addc_u32 s23, s23, s19
	s_cbranch_vccz .LBB8_26
.LBB8_42:                               ;   Parent Loop BB8_12 Depth=1
                                        ;     Parent Loop BB8_27 Depth=2
                                        ; =>    This Loop Header: Depth=3
                                        ;         Child Loop BB8_54 Depth 4
                                        ;           Child Loop BB8_69 Depth 5
	s_ashr_i32 s25, s24, 31
	s_add_u32 s4, s24, 1
	s_addc_u32 s27, s25, 0
	s_mul_i32 s21, s4, s11
	s_mul_hi_u32 s26, s4, s10
	s_mul_i32 s27, s27, s10
	s_add_i32 s21, s26, s21
	s_mul_i32 s4, s4, s10
	s_add_i32 s21, s21, s27
	s_add_u32 s26, s4, -1
	s_addc_u32 s27, s21, -1
	s_delay_alu instid0(SALU_CYCLE_1) | instskip(NEXT) | instid1(SALU_CYCLE_1)
	s_or_b64 s[28:29], s[26:27], s[12:13]
	s_mov_b32 s21, s29
	s_delay_alu instid0(SALU_CYCLE_1)
	s_cmp_lg_u64 s[20:21], 0
	s_cbranch_scc0 .LBB8_81
; %bb.43:                               ;   in Loop: Header=BB8_42 Depth=3
	s_add_u32 s30, s12, s13
	s_mov_b32 s28, s13
	s_mov_b32 s29, s13
	s_addc_u32 s31, s13, s13
	s_delay_alu instid0(SALU_CYCLE_1) | instskip(NEXT) | instid1(SALU_CYCLE_1)
	s_xor_b64 s[30:31], s[30:31], s[28:29]
	v_cvt_f32_u32_e32 v0, s30
	v_cvt_f32_u32_e32 v3, s31
	s_sub_u32 s4, 0, s30
	s_subb_u32 s21, 0, s31
	s_ashr_i32 s34, s27, 31
	s_delay_alu instid0(VALU_DEP_1)
	v_fmac_f32_e32 v0, 0x4f800000, v3
	s_add_u32 s50, s26, s34
	s_mov_b32 s35, s34
	s_addc_u32 s51, s27, s34
	s_xor_b64 s[28:29], s[34:35], s[28:29]
	v_rcp_f32_e32 v0, v0
	s_xor_b64 s[50:51], s[50:51], s[34:35]
	s_waitcnt_depctr 0xfff
	v_mul_f32_e32 v0, 0x5f7ffffc, v0
	s_delay_alu instid0(VALU_DEP_1) | instskip(NEXT) | instid1(VALU_DEP_1)
	v_mul_f32_e32 v3, 0x2f800000, v0
	v_trunc_f32_e32 v3, v3
	s_delay_alu instid0(VALU_DEP_1) | instskip(SKIP_1) | instid1(VALU_DEP_2)
	v_fmac_f32_e32 v0, 0xcf800000, v3
	v_cvt_u32_f32_e32 v3, v3
	v_cvt_u32_f32_e32 v0, v0
	s_delay_alu instid0(VALU_DEP_2) | instskip(NEXT) | instid1(VALU_DEP_2)
	v_mul_lo_u32 v7, s4, v3
	v_mul_hi_u32 v15, s4, v0
	v_mul_lo_u32 v16, s21, v0
	s_delay_alu instid0(VALU_DEP_2) | instskip(SKIP_1) | instid1(VALU_DEP_2)
	v_add_nc_u32_e32 v7, v15, v7
	v_mul_lo_u32 v15, s4, v0
	v_add_nc_u32_e32 v7, v7, v16
	s_delay_alu instid0(VALU_DEP_2) | instskip(NEXT) | instid1(VALU_DEP_2)
	v_mul_hi_u32 v16, v0, v15
	v_mul_lo_u32 v17, v0, v7
	v_mul_hi_u32 v18, v0, v7
	v_mul_hi_u32 v19, v3, v15
	v_mul_lo_u32 v15, v3, v15
	v_mul_hi_u32 v20, v3, v7
	v_mul_lo_u32 v7, v3, v7
	v_add_co_u32 v16, vcc_lo, v16, v17
	v_add_co_ci_u32_e32 v17, vcc_lo, 0, v18, vcc_lo
	s_delay_alu instid0(VALU_DEP_2) | instskip(NEXT) | instid1(VALU_DEP_2)
	v_add_co_u32 v15, vcc_lo, v16, v15
	v_add_co_ci_u32_e32 v15, vcc_lo, v17, v19, vcc_lo
	v_add_co_ci_u32_e32 v16, vcc_lo, 0, v20, vcc_lo
	s_delay_alu instid0(VALU_DEP_2) | instskip(NEXT) | instid1(VALU_DEP_2)
	v_add_co_u32 v7, vcc_lo, v15, v7
	v_add_co_ci_u32_e32 v15, vcc_lo, 0, v16, vcc_lo
	s_delay_alu instid0(VALU_DEP_2) | instskip(NEXT) | instid1(VALU_DEP_2)
	v_add_co_u32 v0, vcc_lo, v0, v7
	v_add_co_ci_u32_e32 v3, vcc_lo, v3, v15, vcc_lo
	s_delay_alu instid0(VALU_DEP_2) | instskip(SKIP_1) | instid1(VALU_DEP_3)
	v_mul_hi_u32 v7, s4, v0
	v_mul_lo_u32 v16, s21, v0
	v_mul_lo_u32 v15, s4, v3
	s_delay_alu instid0(VALU_DEP_1) | instskip(SKIP_1) | instid1(VALU_DEP_2)
	v_add_nc_u32_e32 v7, v7, v15
	v_mul_lo_u32 v15, s4, v0
	v_add_nc_u32_e32 v7, v7, v16
	s_delay_alu instid0(VALU_DEP_2) | instskip(NEXT) | instid1(VALU_DEP_2)
	v_mul_hi_u32 v16, v0, v15
	v_mul_lo_u32 v17, v0, v7
	v_mul_hi_u32 v18, v0, v7
	v_mul_hi_u32 v19, v3, v15
	v_mul_lo_u32 v15, v3, v15
	v_mul_hi_u32 v20, v3, v7
	v_mul_lo_u32 v7, v3, v7
	v_add_co_u32 v16, vcc_lo, v16, v17
	v_add_co_ci_u32_e32 v17, vcc_lo, 0, v18, vcc_lo
	s_delay_alu instid0(VALU_DEP_2) | instskip(NEXT) | instid1(VALU_DEP_2)
	v_add_co_u32 v15, vcc_lo, v16, v15
	v_add_co_ci_u32_e32 v15, vcc_lo, v17, v19, vcc_lo
	v_add_co_ci_u32_e32 v16, vcc_lo, 0, v20, vcc_lo
	s_delay_alu instid0(VALU_DEP_2) | instskip(NEXT) | instid1(VALU_DEP_2)
	v_add_co_u32 v7, vcc_lo, v15, v7
	v_add_co_ci_u32_e32 v15, vcc_lo, 0, v16, vcc_lo
	s_delay_alu instid0(VALU_DEP_2) | instskip(NEXT) | instid1(VALU_DEP_2)
	v_add_co_u32 v0, vcc_lo, v0, v7
	v_add_co_ci_u32_e32 v3, vcc_lo, v3, v15, vcc_lo
	s_delay_alu instid0(VALU_DEP_2) | instskip(SKIP_1) | instid1(VALU_DEP_3)
	v_mul_hi_u32 v7, s50, v0
	v_mul_hi_u32 v17, s51, v0
	v_mul_lo_u32 v15, s50, v3
	v_mul_hi_u32 v16, s50, v3
	v_mul_lo_u32 v0, s51, v0
	;; [unrolled: 2-line block ×3, first 2 shown]
	v_add_co_u32 v7, vcc_lo, v7, v15
	v_add_co_ci_u32_e32 v15, vcc_lo, 0, v16, vcc_lo
	s_delay_alu instid0(VALU_DEP_2) | instskip(NEXT) | instid1(VALU_DEP_2)
	v_add_co_u32 v0, vcc_lo, v7, v0
	v_add_co_ci_u32_e32 v0, vcc_lo, v15, v17, vcc_lo
	v_add_co_ci_u32_e32 v7, vcc_lo, 0, v18, vcc_lo
	s_delay_alu instid0(VALU_DEP_2) | instskip(NEXT) | instid1(VALU_DEP_2)
	v_add_co_u32 v0, vcc_lo, v0, v3
	v_add_co_ci_u32_e32 v3, vcc_lo, 0, v7, vcc_lo
	s_delay_alu instid0(VALU_DEP_2) | instskip(SKIP_1) | instid1(VALU_DEP_3)
	v_mul_hi_u32 v7, s30, v0
	v_mul_lo_u32 v15, s31, v0
	v_mul_lo_u32 v3, s30, v3
	v_add_co_u32 v16, s4, v0, 1
	s_delay_alu instid0(VALU_DEP_2) | instskip(SKIP_1) | instid1(VALU_DEP_2)
	v_add_nc_u32_e32 v3, v7, v3
	v_mul_lo_u32 v7, s30, v0
	v_add_nc_u32_e32 v3, v3, v15
	s_delay_alu instid0(VALU_DEP_2) | instskip(NEXT) | instid1(VALU_DEP_2)
	v_sub_co_u32 v7, vcc_lo, s50, v7
	v_sub_nc_u32_e32 v15, s51, v3
	s_delay_alu instid0(VALU_DEP_1) | instskip(NEXT) | instid1(VALU_DEP_3)
	v_subrev_co_ci_u32_e64 v15, s4, s31, v15, vcc_lo
	v_sub_co_u32 v17, s4, v7, s30
	v_sub_co_ci_u32_e32 v3, vcc_lo, s51, v3, vcc_lo
	s_delay_alu instid0(VALU_DEP_3) | instskip(NEXT) | instid1(VALU_DEP_3)
	v_subrev_co_ci_u32_e64 v15, s4, 0, v15, s4
	v_cmp_le_u32_e32 vcc_lo, s30, v17
	v_cndmask_b32_e64 v17, 0, -1, vcc_lo
	s_delay_alu instid0(VALU_DEP_3)
	v_cmp_le_u32_e32 vcc_lo, s31, v15
	v_cndmask_b32_e64 v18, 0, -1, vcc_lo
	v_cmp_le_u32_e32 vcc_lo, s30, v7
	v_cndmask_b32_e64 v7, 0, -1, vcc_lo
	;; [unrolled: 2-line block ×3, first 2 shown]
	v_cmp_eq_u32_e32 vcc_lo, s31, v15
	v_cndmask_b32_e32 v15, v18, v17, vcc_lo
	v_add_co_u32 v17, vcc_lo, v0, 2
	v_cmp_eq_u32_e32 vcc_lo, s31, v3
	v_cndmask_b32_e32 v3, v19, v7, vcc_lo
	s_delay_alu instid0(VALU_DEP_4) | instskip(NEXT) | instid1(VALU_DEP_4)
	v_cmp_ne_u32_e32 vcc_lo, 0, v15
	v_cndmask_b32_e32 v7, v16, v17, vcc_lo
	s_delay_alu instid0(VALU_DEP_3) | instskip(NEXT) | instid1(VALU_DEP_2)
	v_cmp_ne_u32_e32 vcc_lo, 0, v3
	v_cndmask_b32_e32 v0, v0, v7, vcc_lo
	s_delay_alu instid0(VALU_DEP_1) | instskip(NEXT) | instid1(VALU_DEP_1)
	v_xor_b32_e32 v0, s28, v0
	v_sub_co_u32 v15, vcc_lo, v0, s28
	v_cvt_f32_u32_e32 v0, s12
	s_cbranch_execnz .LBB8_45
.LBB8_44:                               ;   in Loop: Header=BB8_42 Depth=3
	s_delay_alu instid0(VALU_DEP_1) | instskip(SKIP_3) | instid1(VALU_DEP_1)
	v_rcp_iflag_f32_e32 v3, v0
	s_sub_i32 s4, 0, s12
	s_waitcnt_depctr 0xfff
	v_mul_f32_e32 v3, 0x4f7ffffe, v3
	v_cvt_u32_f32_e32 v3, v3
	s_delay_alu instid0(VALU_DEP_1) | instskip(NEXT) | instid1(VALU_DEP_1)
	v_mul_lo_u32 v7, s4, v3
	v_mul_hi_u32 v7, v3, v7
	s_delay_alu instid0(VALU_DEP_1) | instskip(NEXT) | instid1(VALU_DEP_1)
	v_add_nc_u32_e32 v3, v3, v7
	v_mul_hi_u32 v3, s26, v3
	s_delay_alu instid0(VALU_DEP_1) | instskip(SKIP_1) | instid1(VALU_DEP_2)
	v_mul_lo_u32 v7, v3, s12
	v_add_nc_u32_e32 v15, 1, v3
	v_sub_nc_u32_e32 v7, s26, v7
	s_delay_alu instid0(VALU_DEP_1) | instskip(SKIP_1) | instid1(VALU_DEP_2)
	v_subrev_nc_u32_e32 v16, s12, v7
	v_cmp_le_u32_e32 vcc_lo, s12, v7
	v_cndmask_b32_e32 v7, v7, v16, vcc_lo
	v_cndmask_b32_e32 v3, v3, v15, vcc_lo
	s_delay_alu instid0(VALU_DEP_2) | instskip(NEXT) | instid1(VALU_DEP_2)
	v_cmp_le_u32_e32 vcc_lo, s12, v7
	v_add_nc_u32_e32 v15, 1, v3
	s_delay_alu instid0(VALU_DEP_1)
	v_cndmask_b32_e32 v15, v3, v15, vcc_lo
.LBB8_45:                               ;   in Loop: Header=BB8_42 Depth=3
	s_or_b64 s[26:27], s[24:25], s[12:13]
	s_delay_alu instid0(SALU_CYCLE_1) | instskip(NEXT) | instid1(SALU_CYCLE_1)
	s_mov_b32 s21, s27
	s_cmp_lg_u64 s[20:21], 0
	s_cbranch_scc0 .LBB8_82
; %bb.46:                               ;   in Loop: Header=BB8_42 Depth=3
	s_add_u32 s28, s12, s13
	s_mov_b32 s26, s13
	s_mov_b32 s27, s13
	s_addc_u32 s29, s13, s13
	s_delay_alu instid0(SALU_CYCLE_1) | instskip(NEXT) | instid1(SALU_CYCLE_1)
	s_xor_b64 s[28:29], s[28:29], s[26:27]
	v_cvt_f32_u32_e32 v3, s28
	v_cvt_f32_u32_e32 v7, s29
	s_sub_u32 s30, 0, s28
	s_subb_u32 s31, 0, s29
	s_delay_alu instid0(VALU_DEP_1) | instskip(NEXT) | instid1(VALU_DEP_1)
	v_fmac_f32_e32 v3, 0x4f800000, v7
	v_rcp_f32_e32 v3, v3
	s_waitcnt_depctr 0xfff
	v_mul_f32_e32 v3, 0x5f7ffffc, v3
	s_delay_alu instid0(VALU_DEP_1) | instskip(NEXT) | instid1(VALU_DEP_1)
	v_mul_f32_e32 v7, 0x2f800000, v3
	v_trunc_f32_e32 v7, v7
	s_delay_alu instid0(VALU_DEP_1) | instskip(SKIP_1) | instid1(VALU_DEP_2)
	v_fmac_f32_e32 v3, 0xcf800000, v7
	v_cvt_u32_f32_e32 v7, v7
	v_cvt_u32_f32_e32 v3, v3
	s_delay_alu instid0(VALU_DEP_2) | instskip(NEXT) | instid1(VALU_DEP_2)
	v_readfirstlane_b32 s4, v7
	v_readfirstlane_b32 s21, v3
	s_delay_alu instid0(VALU_DEP_2) | instskip(NEXT) | instid1(VALU_DEP_1)
	s_mul_i32 s34, s30, s4
	s_mul_hi_u32 s50, s30, s21
	s_mul_i32 s35, s31, s21
	s_add_i32 s34, s50, s34
	s_mul_i32 s51, s30, s21
	s_add_i32 s34, s34, s35
	s_mul_hi_u32 s50, s21, s51
	s_mul_hi_u32 s52, s4, s51
	s_mul_i32 s35, s4, s51
	s_mul_hi_u32 s51, s21, s34
	s_mul_i32 s21, s21, s34
	s_mul_hi_u32 s53, s4, s34
	s_add_u32 s21, s50, s21
	s_addc_u32 s50, 0, s51
	s_add_u32 s21, s21, s35
	s_mul_i32 s34, s4, s34
	s_addc_u32 s21, s50, s52
	s_addc_u32 s35, s53, 0
	s_add_u32 s21, s21, s34
	s_addc_u32 s34, 0, s35
	v_add_co_u32 v3, s21, v3, s21
	s_delay_alu instid0(VALU_DEP_1) | instskip(SKIP_1) | instid1(VALU_DEP_1)
	s_cmp_lg_u32 s21, 0
	s_addc_u32 s4, s4, s34
	v_readfirstlane_b32 s21, v3
	s_mul_i32 s34, s30, s4
	s_delay_alu instid0(VALU_DEP_1)
	s_mul_hi_u32 s35, s30, s21
	s_mul_i32 s31, s31, s21
	s_add_i32 s34, s35, s34
	s_mul_i32 s30, s30, s21
	s_add_i32 s34, s34, s31
	s_mul_hi_u32 s35, s4, s30
	s_mul_i32 s50, s4, s30
	s_mul_hi_u32 s30, s21, s30
	s_mul_hi_u32 s51, s21, s34
	s_mul_i32 s21, s21, s34
	s_mul_hi_u32 s31, s4, s34
	s_add_u32 s21, s30, s21
	s_addc_u32 s30, 0, s51
	s_add_u32 s21, s21, s50
	s_mul_i32 s34, s4, s34
	s_addc_u32 s21, s30, s35
	s_addc_u32 s30, s31, 0
	s_add_u32 s21, s21, s34
	s_addc_u32 s30, 0, s30
	v_add_co_u32 v3, s21, v3, s21
	s_delay_alu instid0(VALU_DEP_1) | instskip(SKIP_2) | instid1(VALU_DEP_1)
	s_cmp_lg_u32 s21, 0
	s_addc_u32 s4, s4, s30
	s_ashr_i32 s30, s25, 31
	v_readfirstlane_b32 s21, v3
	s_add_u32 s34, s24, s30
	s_mov_b32 s31, s30
	s_addc_u32 s35, s25, s30
	s_delay_alu instid0(SALU_CYCLE_1) | instskip(NEXT) | instid1(SALU_CYCLE_1)
	s_xor_b64 s[34:35], s[34:35], s[30:31]
	s_mul_i32 s51, s34, s4
	s_mul_hi_u32 s52, s34, s21
	s_mul_hi_u32 s50, s34, s4
	;; [unrolled: 1-line block ×3, first 2 shown]
	s_mul_i32 s21, s35, s21
	s_add_u32 s51, s52, s51
	s_addc_u32 s50, 0, s50
	s_mul_hi_u32 s53, s35, s4
	s_add_u32 s21, s51, s21
	s_mul_i32 s4, s35, s4
	s_addc_u32 s21, s50, s54
	s_addc_u32 s50, s53, 0
	s_add_u32 s4, s21, s4
	s_addc_u32 s21, 0, s50
	s_mul_i32 s53, s28, s4
	s_mul_hi_u32 s50, s28, s4
	s_mul_i32 s52, s28, s21
	v_sub_co_u32 v3, s34, s34, s53
	s_mul_i32 s51, s29, s4
	s_add_i32 s50, s50, s52
	s_delay_alu instid0(SALU_CYCLE_1) | instskip(NEXT) | instid1(VALU_DEP_1)
	s_add_i32 s50, s50, s51
	v_sub_co_u32 v7, s52, v3, s28
	s_sub_i32 s51, s35, s50
	s_cmp_lg_u32 s34, 0
	s_subb_u32 s51, s51, s29
	s_cmp_lg_u32 s52, 0
	v_readfirstlane_b32 s52, v7
	s_subb_u32 s51, s51, 0
	s_delay_alu instid0(SALU_CYCLE_1) | instskip(SKIP_1) | instid1(VALU_DEP_1)
	s_cmp_ge_u32 s51, s29
	s_cselect_b32 s53, -1, 0
	s_cmp_ge_u32 s52, s28
	s_cselect_b32 s52, -1, 0
	s_cmp_eq_u32 s51, s29
	s_cselect_b32 s51, s52, s53
	s_add_u32 s52, s4, 1
	s_addc_u32 s53, s21, 0
	s_add_u32 s54, s4, 2
	s_addc_u32 s55, s21, 0
	s_cmp_lg_u32 s51, 0
	s_cselect_b32 s51, s54, s52
	s_cselect_b32 s52, s55, s53
	s_cmp_lg_u32 s34, 0
	v_readfirstlane_b32 s34, v3
	s_subb_u32 s35, s35, s50
	s_delay_alu instid0(SALU_CYCLE_1) | instskip(SKIP_1) | instid1(VALU_DEP_1)
	s_cmp_ge_u32 s35, s29
	s_cselect_b32 s50, -1, 0
	s_cmp_ge_u32 s34, s28
	s_cselect_b32 s28, -1, 0
	s_cmp_eq_u32 s35, s29
	s_cselect_b32 s28, s28, s50
	s_delay_alu instid0(SALU_CYCLE_1) | instskip(SKIP_3) | instid1(SALU_CYCLE_1)
	s_cmp_lg_u32 s28, 0
	s_cselect_b32 s29, s52, s21
	s_cselect_b32 s28, s51, s4
	s_xor_b64 s[26:27], s[30:31], s[26:27]
	s_xor_b64 s[28:29], s[28:29], s[26:27]
	s_delay_alu instid0(SALU_CYCLE_1)
	s_sub_u32 s26, s28, s26
	s_subb_u32 s27, s29, s27
	s_cbranch_execnz .LBB8_48
.LBB8_47:                               ;   in Loop: Header=BB8_42 Depth=3
	v_rcp_iflag_f32_e32 v3, v0
	s_sub_i32 s21, 0, s12
	s_waitcnt_depctr 0xfff
	v_mul_f32_e32 v3, 0x4f7ffffe, v3
	s_delay_alu instid0(VALU_DEP_1) | instskip(NEXT) | instid1(VALU_DEP_1)
	v_cvt_u32_f32_e32 v3, v3
	v_readfirstlane_b32 s4, v3
	s_delay_alu instid0(VALU_DEP_1) | instskip(NEXT) | instid1(SALU_CYCLE_1)
	s_mul_i32 s21, s21, s4
	s_mul_hi_u32 s21, s4, s21
	s_delay_alu instid0(SALU_CYCLE_1) | instskip(NEXT) | instid1(SALU_CYCLE_1)
	s_add_i32 s4, s4, s21
	s_mul_hi_u32 s4, s24, s4
	s_delay_alu instid0(SALU_CYCLE_1) | instskip(SKIP_2) | instid1(SALU_CYCLE_1)
	s_mul_i32 s21, s4, s12
	s_add_i32 s26, s4, 1
	s_sub_i32 s21, s24, s21
	s_sub_i32 s27, s21, s12
	s_cmp_ge_u32 s21, s12
	s_cselect_b32 s4, s26, s4
	s_cselect_b32 s21, s27, s21
	s_add_i32 s26, s4, 1
	s_cmp_ge_u32 s21, s12
	s_mov_b32 s27, s20
	s_cselect_b32 s26, s26, s4
.LBB8_48:                               ;   in Loop: Header=BB8_42 Depth=3
	s_delay_alu instid0(SALU_CYCLE_1) | instskip(SKIP_1) | instid1(SALU_CYCLE_1)
	s_mul_i32 s4, s26, s13
	s_mul_hi_u32 s21, s26, s12
	s_add_i32 s4, s21, s4
	s_mul_i32 s21, s27, s12
	s_mul_i32 s27, s26, s12
	s_add_i32 s4, s4, s21
	s_sub_u32 s21, s24, s27
	s_subb_u32 s4, s25, s4
	s_mul_i32 s27, s21, s11
	s_mul_hi_u32 s28, s21, s10
	s_mul_i32 s4, s4, s10
	s_add_i32 s25, s28, s27
	s_mul_i32 s28, s21, s10
	s_add_i32 s29, s25, s4
	s_delay_alu instid0(SALU_CYCLE_1) | instskip(NEXT) | instid1(SALU_CYCLE_1)
	s_or_b64 s[30:31], s[28:29], s[12:13]
	s_mov_b32 s21, s31
	s_delay_alu instid0(SALU_CYCLE_1)
	s_cmp_lg_u64 s[20:21], 0
	s_cbranch_scc0 .LBB8_83
; %bb.49:                               ;   in Loop: Header=BB8_42 Depth=3
	s_add_u32 s34, s12, s13
	s_mov_b32 s30, s13
	s_mov_b32 s31, s13
	s_addc_u32 s35, s13, s13
	s_delay_alu instid0(SALU_CYCLE_1) | instskip(NEXT) | instid1(SALU_CYCLE_1)
	s_xor_b64 s[34:35], s[34:35], s[30:31]
	v_cvt_f32_u32_e32 v3, s34
	v_cvt_f32_u32_e32 v7, s35
	s_sub_u32 s4, 0, s34
	s_subb_u32 s21, 0, s35
	s_ashr_i32 s50, s29, 31
	s_delay_alu instid0(VALU_DEP_1)
	v_fmac_f32_e32 v3, 0x4f800000, v7
	s_add_u32 s52, s28, s50
	s_mov_b32 s51, s50
	s_addc_u32 s53, s29, s50
	s_xor_b64 s[30:31], s[50:51], s[30:31]
	v_rcp_f32_e32 v3, v3
	s_xor_b64 s[52:53], s[52:53], s[50:51]
	s_waitcnt_depctr 0xfff
	v_mul_f32_e32 v3, 0x5f7ffffc, v3
	s_delay_alu instid0(VALU_DEP_1) | instskip(NEXT) | instid1(VALU_DEP_1)
	v_mul_f32_e32 v7, 0x2f800000, v3
	v_trunc_f32_e32 v7, v7
	s_delay_alu instid0(VALU_DEP_1) | instskip(SKIP_1) | instid1(VALU_DEP_2)
	v_fmac_f32_e32 v3, 0xcf800000, v7
	v_cvt_u32_f32_e32 v7, v7
	v_cvt_u32_f32_e32 v3, v3
	s_delay_alu instid0(VALU_DEP_2) | instskip(NEXT) | instid1(VALU_DEP_2)
	v_mul_lo_u32 v16, s4, v7
	v_mul_hi_u32 v17, s4, v3
	v_mul_lo_u32 v18, s21, v3
	s_delay_alu instid0(VALU_DEP_2) | instskip(SKIP_1) | instid1(VALU_DEP_2)
	v_add_nc_u32_e32 v16, v17, v16
	v_mul_lo_u32 v17, s4, v3
	v_add_nc_u32_e32 v16, v16, v18
	s_delay_alu instid0(VALU_DEP_2) | instskip(NEXT) | instid1(VALU_DEP_2)
	v_mul_hi_u32 v18, v3, v17
	v_mul_lo_u32 v19, v3, v16
	v_mul_hi_u32 v20, v3, v16
	v_mul_hi_u32 v21, v7, v17
	v_mul_lo_u32 v17, v7, v17
	v_mul_hi_u32 v22, v7, v16
	v_mul_lo_u32 v16, v7, v16
	v_add_co_u32 v18, vcc_lo, v18, v19
	v_add_co_ci_u32_e32 v19, vcc_lo, 0, v20, vcc_lo
	s_delay_alu instid0(VALU_DEP_2) | instskip(NEXT) | instid1(VALU_DEP_2)
	v_add_co_u32 v17, vcc_lo, v18, v17
	v_add_co_ci_u32_e32 v17, vcc_lo, v19, v21, vcc_lo
	v_add_co_ci_u32_e32 v18, vcc_lo, 0, v22, vcc_lo
	s_delay_alu instid0(VALU_DEP_2) | instskip(NEXT) | instid1(VALU_DEP_2)
	v_add_co_u32 v16, vcc_lo, v17, v16
	v_add_co_ci_u32_e32 v17, vcc_lo, 0, v18, vcc_lo
	s_delay_alu instid0(VALU_DEP_2) | instskip(NEXT) | instid1(VALU_DEP_2)
	v_add_co_u32 v3, vcc_lo, v3, v16
	v_add_co_ci_u32_e32 v7, vcc_lo, v7, v17, vcc_lo
	s_delay_alu instid0(VALU_DEP_2) | instskip(SKIP_1) | instid1(VALU_DEP_3)
	v_mul_hi_u32 v16, s4, v3
	v_mul_lo_u32 v18, s21, v3
	v_mul_lo_u32 v17, s4, v7
	s_delay_alu instid0(VALU_DEP_1) | instskip(SKIP_1) | instid1(VALU_DEP_2)
	v_add_nc_u32_e32 v16, v16, v17
	v_mul_lo_u32 v17, s4, v3
	v_add_nc_u32_e32 v16, v16, v18
	s_delay_alu instid0(VALU_DEP_2) | instskip(NEXT) | instid1(VALU_DEP_2)
	v_mul_hi_u32 v18, v3, v17
	v_mul_lo_u32 v19, v3, v16
	v_mul_hi_u32 v20, v3, v16
	v_mul_hi_u32 v21, v7, v17
	v_mul_lo_u32 v17, v7, v17
	v_mul_hi_u32 v22, v7, v16
	v_mul_lo_u32 v16, v7, v16
	v_add_co_u32 v18, vcc_lo, v18, v19
	v_add_co_ci_u32_e32 v19, vcc_lo, 0, v20, vcc_lo
	s_delay_alu instid0(VALU_DEP_2) | instskip(NEXT) | instid1(VALU_DEP_2)
	v_add_co_u32 v17, vcc_lo, v18, v17
	v_add_co_ci_u32_e32 v17, vcc_lo, v19, v21, vcc_lo
	v_add_co_ci_u32_e32 v18, vcc_lo, 0, v22, vcc_lo
	s_delay_alu instid0(VALU_DEP_2) | instskip(NEXT) | instid1(VALU_DEP_2)
	v_add_co_u32 v16, vcc_lo, v17, v16
	v_add_co_ci_u32_e32 v17, vcc_lo, 0, v18, vcc_lo
	s_delay_alu instid0(VALU_DEP_2) | instskip(NEXT) | instid1(VALU_DEP_2)
	v_add_co_u32 v3, vcc_lo, v3, v16
	v_add_co_ci_u32_e32 v7, vcc_lo, v7, v17, vcc_lo
	s_delay_alu instid0(VALU_DEP_2) | instskip(SKIP_1) | instid1(VALU_DEP_3)
	v_mul_hi_u32 v16, s52, v3
	v_mul_hi_u32 v19, s53, v3
	v_mul_lo_u32 v17, s52, v7
	v_mul_hi_u32 v18, s52, v7
	v_mul_lo_u32 v3, s53, v3
	;; [unrolled: 2-line block ×3, first 2 shown]
	v_add_co_u32 v16, vcc_lo, v16, v17
	v_add_co_ci_u32_e32 v17, vcc_lo, 0, v18, vcc_lo
	s_delay_alu instid0(VALU_DEP_2) | instskip(NEXT) | instid1(VALU_DEP_2)
	v_add_co_u32 v3, vcc_lo, v16, v3
	v_add_co_ci_u32_e32 v3, vcc_lo, v17, v19, vcc_lo
	v_add_co_ci_u32_e32 v16, vcc_lo, 0, v20, vcc_lo
	s_delay_alu instid0(VALU_DEP_2) | instskip(NEXT) | instid1(VALU_DEP_2)
	v_add_co_u32 v3, vcc_lo, v3, v7
	v_add_co_ci_u32_e32 v7, vcc_lo, 0, v16, vcc_lo
	s_delay_alu instid0(VALU_DEP_2) | instskip(SKIP_1) | instid1(VALU_DEP_3)
	v_mul_hi_u32 v16, s34, v3
	v_mul_lo_u32 v17, s35, v3
	v_mul_lo_u32 v7, s34, v7
	v_add_co_u32 v18, s4, v3, 1
	s_delay_alu instid0(VALU_DEP_2) | instskip(SKIP_1) | instid1(VALU_DEP_2)
	v_add_nc_u32_e32 v7, v16, v7
	v_mul_lo_u32 v16, s34, v3
	v_add_nc_u32_e32 v7, v7, v17
	s_delay_alu instid0(VALU_DEP_2) | instskip(NEXT) | instid1(VALU_DEP_2)
	v_sub_co_u32 v16, vcc_lo, s52, v16
	v_sub_nc_u32_e32 v17, s53, v7
	s_delay_alu instid0(VALU_DEP_1) | instskip(NEXT) | instid1(VALU_DEP_3)
	v_subrev_co_ci_u32_e64 v17, s4, s35, v17, vcc_lo
	v_sub_co_u32 v19, s4, v16, s34
	v_sub_co_ci_u32_e32 v7, vcc_lo, s53, v7, vcc_lo
	s_delay_alu instid0(VALU_DEP_3) | instskip(NEXT) | instid1(VALU_DEP_3)
	v_subrev_co_ci_u32_e64 v17, s4, 0, v17, s4
	v_cmp_le_u32_e32 vcc_lo, s34, v19
	v_cndmask_b32_e64 v19, 0, -1, vcc_lo
	s_delay_alu instid0(VALU_DEP_3)
	v_cmp_le_u32_e32 vcc_lo, s35, v17
	v_cndmask_b32_e64 v20, 0, -1, vcc_lo
	v_cmp_le_u32_e32 vcc_lo, s34, v16
	v_cndmask_b32_e64 v16, 0, -1, vcc_lo
	;; [unrolled: 2-line block ×3, first 2 shown]
	v_cmp_eq_u32_e32 vcc_lo, s35, v17
	v_cndmask_b32_e32 v17, v20, v19, vcc_lo
	v_add_co_u32 v19, vcc_lo, v3, 2
	v_cmp_eq_u32_e32 vcc_lo, s35, v7
	v_cndmask_b32_e32 v7, v21, v16, vcc_lo
	s_delay_alu instid0(VALU_DEP_4) | instskip(NEXT) | instid1(VALU_DEP_4)
	v_cmp_ne_u32_e32 vcc_lo, 0, v17
	v_cndmask_b32_e32 v16, v18, v19, vcc_lo
	s_delay_alu instid0(VALU_DEP_3) | instskip(NEXT) | instid1(VALU_DEP_2)
	v_cmp_ne_u32_e32 vcc_lo, 0, v7
	v_cndmask_b32_e32 v3, v3, v16, vcc_lo
	s_delay_alu instid0(VALU_DEP_1) | instskip(NEXT) | instid1(VALU_DEP_1)
	v_xor_b32_e32 v3, s30, v3
	v_sub_co_u32 v16, vcc_lo, v3, s30
	s_cbranch_execnz .LBB8_51
.LBB8_50:                               ;   in Loop: Header=BB8_42 Depth=3
	v_rcp_iflag_f32_e32 v0, v0
	s_sub_i32 s4, 0, s12
	s_waitcnt_depctr 0xfff
	v_mul_f32_e32 v0, 0x4f7ffffe, v0
	s_delay_alu instid0(VALU_DEP_1) | instskip(NEXT) | instid1(VALU_DEP_1)
	v_cvt_u32_f32_e32 v0, v0
	v_mul_lo_u32 v3, s4, v0
	s_delay_alu instid0(VALU_DEP_1) | instskip(NEXT) | instid1(VALU_DEP_1)
	v_mul_hi_u32 v3, v0, v3
	v_add_nc_u32_e32 v0, v0, v3
	s_delay_alu instid0(VALU_DEP_1) | instskip(NEXT) | instid1(VALU_DEP_1)
	v_mul_hi_u32 v0, s28, v0
	v_mul_lo_u32 v3, v0, s12
	v_add_nc_u32_e32 v7, 1, v0
	s_delay_alu instid0(VALU_DEP_2) | instskip(NEXT) | instid1(VALU_DEP_1)
	v_sub_nc_u32_e32 v3, s28, v3
	v_subrev_nc_u32_e32 v16, s12, v3
	v_cmp_le_u32_e32 vcc_lo, s12, v3
	s_delay_alu instid0(VALU_DEP_2) | instskip(NEXT) | instid1(VALU_DEP_1)
	v_dual_cndmask_b32 v3, v3, v16 :: v_dual_cndmask_b32 v0, v0, v7
	v_cmp_le_u32_e32 vcc_lo, s12, v3
	s_delay_alu instid0(VALU_DEP_2) | instskip(NEXT) | instid1(VALU_DEP_1)
	v_add_nc_u32_e32 v7, 1, v0
	v_cndmask_b32_e32 v16, v0, v7, vcc_lo
.LBB8_51:                               ;   in Loop: Header=BB8_42 Depth=3
	s_and_saveexec_b32 s21, s2
	s_cbranch_execz .LBB8_41
; %bb.52:                               ;   in Loop: Header=BB8_42 Depth=3
	s_mul_i32 s4, s26, s10
	s_mov_b32 s25, 0
	v_dual_mov_b32 v7, v4 :: v_dual_add_nc_u32 v0, s4, v16
	s_delay_alu instid0(VALU_DEP_1) | instskip(NEXT) | instid1(VALU_DEP_1)
	v_sub_nc_u32_e32 v0, v15, v0
	v_dual_mov_b32 v15, v12 :: v_dual_add_nc_u32 v0, 1, v0
	s_branch .LBB8_54
.LBB8_53:                               ;   in Loop: Header=BB8_54 Depth=4
	s_or_b32 exec_lo, exec_lo, s30
	v_add_nc_u32_e32 v7, 1, v7
	v_add_nc_u32_e32 v15, s9, v15
	s_delay_alu instid0(VALU_DEP_2) | instskip(SKIP_1) | instid1(SALU_CYCLE_1)
	v_cmp_ge_i32_e32 vcc_lo, v7, v36
	s_or_b32 s25, vcc_lo, s25
	s_and_not1_b32 exec_lo, exec_lo, s25
	s_cbranch_execz .LBB8_41
.LBB8_54:                               ;   Parent Loop BB8_12 Depth=1
                                        ;     Parent Loop BB8_27 Depth=2
                                        ;       Parent Loop BB8_42 Depth=3
                                        ; =>      This Loop Header: Depth=4
                                        ;           Child Loop BB8_69 Depth 5
	s_and_saveexec_b32 s30, s3
	s_cbranch_execz .LBB8_53
; %bb.55:                               ;   in Loop: Header=BB8_54 Depth=4
	v_ashrrev_i32_e32 v18, 31, v7
	v_add_co_u32 v3, vcc_lo, v7, 1
	s_mov_b32 s4, exec_lo
	s_delay_alu instid0(VALU_DEP_2) | instskip(NEXT) | instid1(VALU_DEP_2)
	v_add_co_ci_u32_e32 v16, vcc_lo, 0, v18, vcc_lo
	v_mul_lo_u32 v19, v3, s17
	s_delay_alu instid0(VALU_DEP_2) | instskip(SKIP_1) | instid1(VALU_DEP_1)
	v_mul_lo_u32 v20, v16, s37
	v_mad_u64_u32 v[16:17], null, v3, s37, -1
	v_add3_u32 v17, v20, v17, v19
                                        ; implicit-def: $vgpr19_vgpr20
	s_delay_alu instid0(VALU_DEP_1) | instskip(NEXT) | instid1(VALU_DEP_1)
	v_or_b32_e32 v3, s45, v17
	v_cmpx_ne_u64_e32 0, v[2:3]
	s_xor_b32 s31, exec_lo, s4
	s_cbranch_execz .LBB8_57
; %bb.56:                               ;   in Loop: Header=BB8_54 Depth=4
	s_add_u32 s28, s41, s45
	s_mov_b32 s26, s45
	s_mov_b32 s27, s45
	s_addc_u32 s29, s45, s45
	s_delay_alu instid0(SALU_CYCLE_1) | instskip(NEXT) | instid1(SALU_CYCLE_1)
	s_xor_b64 s[28:29], s[28:29], s[26:27]
	v_cvt_f32_u32_e32 v3, s28
	v_cvt_f32_u32_e32 v19, s29
	s_sub_u32 s4, 0, s28
	s_subb_u32 s27, 0, s29
	s_delay_alu instid0(VALU_DEP_1) | instskip(NEXT) | instid1(VALU_DEP_1)
	v_fmac_f32_e32 v3, 0x4f800000, v19
	v_rcp_f32_e32 v3, v3
	s_waitcnt_depctr 0xfff
	v_mul_f32_e32 v3, 0x5f7ffffc, v3
	s_delay_alu instid0(VALU_DEP_1) | instskip(NEXT) | instid1(VALU_DEP_1)
	v_mul_f32_e32 v19, 0x2f800000, v3
	v_trunc_f32_e32 v19, v19
	s_delay_alu instid0(VALU_DEP_1) | instskip(SKIP_1) | instid1(VALU_DEP_2)
	v_fmac_f32_e32 v3, 0xcf800000, v19
	v_cvt_u32_f32_e32 v19, v19
	v_cvt_u32_f32_e32 v3, v3
	s_delay_alu instid0(VALU_DEP_2) | instskip(NEXT) | instid1(VALU_DEP_2)
	v_mul_lo_u32 v20, s4, v19
	v_mul_hi_u32 v21, s4, v3
	v_mul_lo_u32 v22, s27, v3
	s_delay_alu instid0(VALU_DEP_2) | instskip(SKIP_1) | instid1(VALU_DEP_2)
	v_add_nc_u32_e32 v20, v21, v20
	v_mul_lo_u32 v21, s4, v3
	v_add_nc_u32_e32 v20, v20, v22
	s_delay_alu instid0(VALU_DEP_2) | instskip(NEXT) | instid1(VALU_DEP_2)
	v_mul_hi_u32 v22, v3, v21
	v_mul_lo_u32 v23, v3, v20
	v_mul_hi_u32 v24, v3, v20
	v_mul_hi_u32 v25, v19, v21
	v_mul_lo_u32 v21, v19, v21
	v_mul_hi_u32 v26, v19, v20
	v_mul_lo_u32 v20, v19, v20
	v_add_co_u32 v22, vcc_lo, v22, v23
	v_add_co_ci_u32_e32 v23, vcc_lo, 0, v24, vcc_lo
	s_delay_alu instid0(VALU_DEP_2) | instskip(NEXT) | instid1(VALU_DEP_2)
	v_add_co_u32 v21, vcc_lo, v22, v21
	v_add_co_ci_u32_e32 v21, vcc_lo, v23, v25, vcc_lo
	v_add_co_ci_u32_e32 v22, vcc_lo, 0, v26, vcc_lo
	v_ashrrev_i32_e32 v25, 31, v17
	s_delay_alu instid0(VALU_DEP_3) | instskip(NEXT) | instid1(VALU_DEP_3)
	v_add_co_u32 v20, vcc_lo, v21, v20
	v_add_co_ci_u32_e32 v21, vcc_lo, 0, v22, vcc_lo
	s_delay_alu instid0(VALU_DEP_2) | instskip(NEXT) | instid1(VALU_DEP_2)
	v_add_co_u32 v3, vcc_lo, v3, v20
	v_add_co_ci_u32_e32 v19, vcc_lo, v19, v21, vcc_lo
	s_delay_alu instid0(VALU_DEP_2) | instskip(SKIP_1) | instid1(VALU_DEP_3)
	v_mul_hi_u32 v20, s4, v3
	v_mul_lo_u32 v22, s27, v3
	v_mul_lo_u32 v21, s4, v19
	s_delay_alu instid0(VALU_DEP_1) | instskip(SKIP_1) | instid1(VALU_DEP_2)
	v_add_nc_u32_e32 v20, v20, v21
	v_mul_lo_u32 v21, s4, v3
	v_add_nc_u32_e32 v20, v20, v22
	s_delay_alu instid0(VALU_DEP_2) | instskip(NEXT) | instid1(VALU_DEP_2)
	v_mul_hi_u32 v22, v3, v21
	v_mul_lo_u32 v23, v3, v20
	v_mul_hi_u32 v24, v3, v20
	v_mul_hi_u32 v26, v19, v21
	v_mul_lo_u32 v21, v19, v21
	v_mul_hi_u32 v27, v19, v20
	v_mul_lo_u32 v20, v19, v20
	v_add_co_u32 v22, vcc_lo, v22, v23
	v_add_co_ci_u32_e32 v23, vcc_lo, 0, v24, vcc_lo
	s_delay_alu instid0(VALU_DEP_2) | instskip(NEXT) | instid1(VALU_DEP_2)
	v_add_co_u32 v21, vcc_lo, v22, v21
	v_add_co_ci_u32_e32 v21, vcc_lo, v23, v26, vcc_lo
	v_add_co_ci_u32_e32 v22, vcc_lo, 0, v27, vcc_lo
	v_add_co_u32 v16, vcc_lo, v16, v25
	v_add_co_ci_u32_e32 v17, vcc_lo, v17, v25, vcc_lo
	s_delay_alu instid0(VALU_DEP_4) | instskip(NEXT) | instid1(VALU_DEP_4)
	v_add_co_u32 v20, vcc_lo, v21, v20
	v_add_co_ci_u32_e32 v21, vcc_lo, 0, v22, vcc_lo
	s_delay_alu instid0(VALU_DEP_4) | instskip(NEXT) | instid1(VALU_DEP_3)
	v_xor_b32_e32 v23, v16, v25
	v_add_co_u32 v3, vcc_lo, v3, v20
	s_delay_alu instid0(VALU_DEP_3) | instskip(SKIP_1) | instid1(VALU_DEP_3)
	v_add_co_ci_u32_e32 v24, vcc_lo, v19, v21, vcc_lo
	v_xor_b32_e32 v26, v17, v25
	v_mul_hi_u32 v27, v23, v3
	s_delay_alu instid0(VALU_DEP_3) | instskip(NEXT) | instid1(VALU_DEP_3)
	v_mad_u64_u32 v[16:17], null, v23, v24, 0
	v_mad_u64_u32 v[19:20], null, v26, v3, 0
	;; [unrolled: 1-line block ×3, first 2 shown]
	s_delay_alu instid0(VALU_DEP_3) | instskip(NEXT) | instid1(VALU_DEP_4)
	v_add_co_u32 v3, vcc_lo, v27, v16
	v_add_co_ci_u32_e32 v16, vcc_lo, 0, v17, vcc_lo
	s_delay_alu instid0(VALU_DEP_2) | instskip(NEXT) | instid1(VALU_DEP_2)
	v_add_co_u32 v3, vcc_lo, v3, v19
	v_add_co_ci_u32_e32 v3, vcc_lo, v16, v20, vcc_lo
	v_add_co_ci_u32_e32 v16, vcc_lo, 0, v22, vcc_lo
	s_delay_alu instid0(VALU_DEP_2) | instskip(NEXT) | instid1(VALU_DEP_2)
	v_add_co_u32 v3, vcc_lo, v3, v21
	v_add_co_ci_u32_e32 v19, vcc_lo, 0, v16, vcc_lo
	s_delay_alu instid0(VALU_DEP_2) | instskip(SKIP_1) | instid1(VALU_DEP_3)
	v_mul_lo_u32 v20, s29, v3
	v_mad_u64_u32 v[16:17], null, s28, v3, 0
	v_mul_lo_u32 v19, s28, v19
	s_delay_alu instid0(VALU_DEP_2) | instskip(NEXT) | instid1(VALU_DEP_2)
	v_sub_co_u32 v16, vcc_lo, v23, v16
	v_add3_u32 v17, v17, v19, v20
	v_add_co_u32 v20, s4, v3, 2
	s_delay_alu instid0(VALU_DEP_2) | instskip(NEXT) | instid1(VALU_DEP_1)
	v_sub_nc_u32_e32 v19, v26, v17
	v_subrev_co_ci_u32_e64 v19, s4, s29, v19, vcc_lo
	v_sub_co_u32 v21, s4, v16, s28
	v_sub_co_ci_u32_e32 v17, vcc_lo, v26, v17, vcc_lo
	s_delay_alu instid0(VALU_DEP_3) | instskip(NEXT) | instid1(VALU_DEP_3)
	v_subrev_co_ci_u32_e64 v19, s4, 0, v19, s4
	v_cmp_le_u32_e32 vcc_lo, s28, v21
	v_cndmask_b32_e64 v21, 0, -1, vcc_lo
	s_delay_alu instid0(VALU_DEP_3)
	v_cmp_le_u32_e32 vcc_lo, s29, v19
	v_cndmask_b32_e64 v22, 0, -1, vcc_lo
	v_cmp_le_u32_e32 vcc_lo, s28, v16
	v_cndmask_b32_e64 v16, 0, -1, vcc_lo
	v_cmp_le_u32_e32 vcc_lo, s29, v17
	v_cndmask_b32_e64 v23, 0, -1, vcc_lo
	v_cmp_eq_u32_e32 vcc_lo, s29, v19
	v_cndmask_b32_e32 v19, v22, v21, vcc_lo
	v_add_co_u32 v21, vcc_lo, v3, 1
	v_cmp_eq_u32_e32 vcc_lo, s29, v17
	v_cndmask_b32_e32 v16, v23, v16, vcc_lo
	s_delay_alu instid0(VALU_DEP_4) | instskip(NEXT) | instid1(VALU_DEP_4)
	v_cmp_ne_u32_e32 vcc_lo, 0, v19
	v_cndmask_b32_e32 v17, v21, v20, vcc_lo
	s_delay_alu instid0(VALU_DEP_3) | instskip(SKIP_1) | instid1(VALU_DEP_3)
	v_cmp_ne_u32_e32 vcc_lo, 0, v16
	v_xor_b32_e32 v16, s26, v25
	v_cndmask_b32_e32 v3, v3, v17, vcc_lo
	s_delay_alu instid0(VALU_DEP_1) | instskip(NEXT) | instid1(VALU_DEP_1)
	v_xor_b32_e32 v3, v3, v16
	v_sub_co_u32 v19, vcc_lo, v3, v16
                                        ; implicit-def: $vgpr16_vgpr17
.LBB8_57:                               ;   in Loop: Header=BB8_54 Depth=4
	s_or_saveexec_b32 s4, s31
	v_cvt_f32_u32_e32 v3, s41
	s_delay_alu instid0(VALU_DEP_1)
	v_rcp_iflag_f32_e32 v22, v3
	s_xor_b32 exec_lo, exec_lo, s4
	s_cbranch_execz .LBB8_59
; %bb.58:                               ;   in Loop: Header=BB8_54 Depth=4
	s_waitcnt_depctr 0xfff
	v_mul_f32_e32 v3, 0x4f7ffffe, v22
	s_sub_i32 s26, 0, s41
	s_delay_alu instid0(VALU_DEP_1) | instskip(NEXT) | instid1(VALU_DEP_1)
	v_cvt_u32_f32_e32 v3, v3
	v_mul_lo_u32 v17, s26, v3
	s_delay_alu instid0(VALU_DEP_1) | instskip(NEXT) | instid1(VALU_DEP_1)
	v_mul_hi_u32 v17, v3, v17
	v_add_nc_u32_e32 v3, v3, v17
	s_delay_alu instid0(VALU_DEP_1) | instskip(NEXT) | instid1(VALU_DEP_1)
	v_mul_hi_u32 v3, v16, v3
	v_mul_lo_u32 v17, v3, s41
	s_delay_alu instid0(VALU_DEP_1) | instskip(SKIP_1) | instid1(VALU_DEP_2)
	v_sub_nc_u32_e32 v16, v16, v17
	v_add_nc_u32_e32 v17, 1, v3
	v_subrev_nc_u32_e32 v19, s41, v16
	v_cmp_le_u32_e32 vcc_lo, s41, v16
	s_delay_alu instid0(VALU_DEP_2) | instskip(NEXT) | instid1(VALU_DEP_1)
	v_dual_cndmask_b32 v16, v16, v19 :: v_dual_cndmask_b32 v3, v3, v17
	v_cmp_le_u32_e32 vcc_lo, s41, v16
	s_delay_alu instid0(VALU_DEP_2) | instskip(NEXT) | instid1(VALU_DEP_1)
	v_add_nc_u32_e32 v17, 1, v3
	v_cndmask_b32_e32 v19, v3, v17, vcc_lo
.LBB8_59:                               ;   in Loop: Header=BB8_54 Depth=4
	s_or_b32 exec_lo, exec_lo, s4
	v_or_b32_e32 v3, s45, v18
                                        ; implicit-def: $vgpr16_vgpr17
	s_mov_b32 s4, exec_lo
	s_delay_alu instid0(VALU_DEP_1)
	v_cmpx_ne_u64_e32 0, v[2:3]
	s_xor_b32 s31, exec_lo, s4
	s_cbranch_execz .LBB8_61
; %bb.60:                               ;   in Loop: Header=BB8_54 Depth=4
	s_add_u32 s28, s41, s45
	s_mov_b32 s26, s45
	s_mov_b32 s27, s45
	s_addc_u32 s29, s45, s45
	s_delay_alu instid0(SALU_CYCLE_1) | instskip(NEXT) | instid1(SALU_CYCLE_1)
	s_xor_b64 s[28:29], s[28:29], s[26:27]
	v_cvt_f32_u32_e32 v3, s28
	v_cvt_f32_u32_e32 v16, s29
	s_sub_u32 s4, 0, s28
	s_subb_u32 s34, 0, s29
	s_delay_alu instid0(VALU_DEP_1) | instskip(NEXT) | instid1(VALU_DEP_1)
	v_fmac_f32_e32 v3, 0x4f800000, v16
	v_rcp_f32_e32 v3, v3
	s_waitcnt_depctr 0xfff
	v_mul_f32_e32 v3, 0x5f7ffffc, v3
	s_delay_alu instid0(VALU_DEP_1) | instskip(NEXT) | instid1(VALU_DEP_1)
	v_mul_f32_e32 v16, 0x2f800000, v3
	v_trunc_f32_e32 v16, v16
	s_delay_alu instid0(VALU_DEP_1) | instskip(SKIP_1) | instid1(VALU_DEP_2)
	v_fmac_f32_e32 v3, 0xcf800000, v16
	v_cvt_u32_f32_e32 v16, v16
	v_cvt_u32_f32_e32 v3, v3
	s_delay_alu instid0(VALU_DEP_2) | instskip(NEXT) | instid1(VALU_DEP_2)
	v_mul_lo_u32 v17, s4, v16
	v_mul_hi_u32 v20, s4, v3
	v_mul_lo_u32 v21, s34, v3
	s_delay_alu instid0(VALU_DEP_2) | instskip(SKIP_1) | instid1(VALU_DEP_2)
	v_add_nc_u32_e32 v17, v20, v17
	v_mul_lo_u32 v20, s4, v3
	v_add_nc_u32_e32 v17, v17, v21
	s_delay_alu instid0(VALU_DEP_2) | instskip(NEXT) | instid1(VALU_DEP_2)
	v_mul_hi_u32 v21, v3, v20
	v_mul_lo_u32 v23, v3, v17
	v_mul_hi_u32 v24, v3, v17
	v_mul_hi_u32 v25, v16, v20
	v_mul_lo_u32 v20, v16, v20
	v_mul_hi_u32 v26, v16, v17
	v_mul_lo_u32 v17, v16, v17
	v_add_co_u32 v21, vcc_lo, v21, v23
	v_add_co_ci_u32_e32 v23, vcc_lo, 0, v24, vcc_lo
	s_delay_alu instid0(VALU_DEP_2) | instskip(NEXT) | instid1(VALU_DEP_2)
	v_add_co_u32 v20, vcc_lo, v21, v20
	v_add_co_ci_u32_e32 v20, vcc_lo, v23, v25, vcc_lo
	v_add_co_ci_u32_e32 v21, vcc_lo, 0, v26, vcc_lo
	v_ashrrev_i32_e32 v25, 31, v18
	s_delay_alu instid0(VALU_DEP_3) | instskip(NEXT) | instid1(VALU_DEP_3)
	v_add_co_u32 v17, vcc_lo, v20, v17
	v_add_co_ci_u32_e32 v20, vcc_lo, 0, v21, vcc_lo
	s_delay_alu instid0(VALU_DEP_2) | instskip(NEXT) | instid1(VALU_DEP_2)
	v_add_co_u32 v3, vcc_lo, v3, v17
	v_add_co_ci_u32_e32 v16, vcc_lo, v16, v20, vcc_lo
	s_delay_alu instid0(VALU_DEP_2) | instskip(SKIP_1) | instid1(VALU_DEP_3)
	v_mul_hi_u32 v17, s4, v3
	v_mul_lo_u32 v21, s34, v3
	v_mul_lo_u32 v20, s4, v16
	s_delay_alu instid0(VALU_DEP_1) | instskip(SKIP_1) | instid1(VALU_DEP_2)
	v_add_nc_u32_e32 v17, v17, v20
	v_mul_lo_u32 v20, s4, v3
	v_add_nc_u32_e32 v17, v17, v21
	s_delay_alu instid0(VALU_DEP_2) | instskip(NEXT) | instid1(VALU_DEP_2)
	v_mul_hi_u32 v21, v3, v20
	v_mul_lo_u32 v23, v3, v17
	v_mul_hi_u32 v24, v3, v17
	v_mul_hi_u32 v26, v16, v20
	v_mul_lo_u32 v20, v16, v20
	v_mul_hi_u32 v27, v16, v17
	v_mul_lo_u32 v17, v16, v17
	v_add_co_u32 v21, vcc_lo, v21, v23
	v_add_co_ci_u32_e32 v23, vcc_lo, 0, v24, vcc_lo
	s_delay_alu instid0(VALU_DEP_2) | instskip(NEXT) | instid1(VALU_DEP_2)
	v_add_co_u32 v20, vcc_lo, v21, v20
	v_add_co_ci_u32_e32 v20, vcc_lo, v23, v26, vcc_lo
	v_add_co_ci_u32_e32 v21, vcc_lo, 0, v27, vcc_lo
	v_add_co_u32 v23, vcc_lo, v7, v25
	v_add_co_ci_u32_e32 v24, vcc_lo, v18, v25, vcc_lo
	s_delay_alu instid0(VALU_DEP_4) | instskip(NEXT) | instid1(VALU_DEP_4)
	v_add_co_u32 v17, vcc_lo, v20, v17
	v_add_co_ci_u32_e32 v20, vcc_lo, 0, v21, vcc_lo
	s_delay_alu instid0(VALU_DEP_4) | instskip(NEXT) | instid1(VALU_DEP_3)
	v_xor_b32_e32 v26, v23, v25
	v_add_co_u32 v3, vcc_lo, v3, v17
	s_delay_alu instid0(VALU_DEP_3) | instskip(SKIP_1) | instid1(VALU_DEP_3)
	v_add_co_ci_u32_e32 v27, vcc_lo, v16, v20, vcc_lo
	v_xor_b32_e32 v28, v24, v25
	v_mul_hi_u32 v29, v26, v3
	s_delay_alu instid0(VALU_DEP_3) | instskip(NEXT) | instid1(VALU_DEP_3)
	v_mad_u64_u32 v[16:17], null, v26, v27, 0
	v_mad_u64_u32 v[20:21], null, v28, v3, 0
	;; [unrolled: 1-line block ×3, first 2 shown]
	s_delay_alu instid0(VALU_DEP_3) | instskip(NEXT) | instid1(VALU_DEP_4)
	v_add_co_u32 v3, vcc_lo, v29, v16
	v_add_co_ci_u32_e32 v16, vcc_lo, 0, v17, vcc_lo
	s_delay_alu instid0(VALU_DEP_2) | instskip(NEXT) | instid1(VALU_DEP_2)
	v_add_co_u32 v3, vcc_lo, v3, v20
	v_add_co_ci_u32_e32 v3, vcc_lo, v16, v21, vcc_lo
	v_add_co_ci_u32_e32 v16, vcc_lo, 0, v24, vcc_lo
	s_delay_alu instid0(VALU_DEP_2) | instskip(NEXT) | instid1(VALU_DEP_2)
	v_add_co_u32 v3, vcc_lo, v3, v23
	v_add_co_ci_u32_e32 v20, vcc_lo, 0, v16, vcc_lo
	s_delay_alu instid0(VALU_DEP_2) | instskip(SKIP_1) | instid1(VALU_DEP_3)
	v_mul_lo_u32 v21, s29, v3
	v_mad_u64_u32 v[16:17], null, s28, v3, 0
	v_mul_lo_u32 v23, s28, v20
	s_delay_alu instid0(VALU_DEP_2) | instskip(NEXT) | instid1(VALU_DEP_2)
	v_sub_co_u32 v16, vcc_lo, v26, v16
	v_add3_u32 v17, v17, v23, v21
	s_delay_alu instid0(VALU_DEP_1) | instskip(NEXT) | instid1(VALU_DEP_1)
	v_sub_nc_u32_e32 v21, v28, v17
	v_subrev_co_ci_u32_e64 v21, s4, s29, v21, vcc_lo
	v_add_co_u32 v23, s4, v3, 2
	s_delay_alu instid0(VALU_DEP_1) | instskip(SKIP_3) | instid1(VALU_DEP_3)
	v_add_co_ci_u32_e64 v24, s4, 0, v20, s4
	v_sub_co_u32 v26, s4, v16, s28
	v_sub_co_ci_u32_e32 v17, vcc_lo, v28, v17, vcc_lo
	v_subrev_co_ci_u32_e64 v21, s4, 0, v21, s4
	v_cmp_le_u32_e32 vcc_lo, s28, v26
	s_delay_alu instid0(VALU_DEP_3) | instskip(SKIP_1) | instid1(VALU_DEP_4)
	v_cmp_eq_u32_e64 s4, s29, v17
	v_cndmask_b32_e64 v26, 0, -1, vcc_lo
	v_cmp_le_u32_e32 vcc_lo, s29, v21
	v_cndmask_b32_e64 v27, 0, -1, vcc_lo
	v_cmp_le_u32_e32 vcc_lo, s28, v16
	;; [unrolled: 2-line block ×3, first 2 shown]
	v_cndmask_b32_e64 v28, 0, -1, vcc_lo
	v_cmp_eq_u32_e32 vcc_lo, s29, v21
	s_delay_alu instid0(VALU_DEP_2) | instskip(SKIP_3) | instid1(VALU_DEP_3)
	v_cndmask_b32_e64 v16, v28, v16, s4
	v_cndmask_b32_e32 v21, v27, v26, vcc_lo
	v_add_co_u32 v26, vcc_lo, v3, 1
	v_add_co_ci_u32_e32 v27, vcc_lo, 0, v20, vcc_lo
	v_cmp_ne_u32_e32 vcc_lo, 0, v21
	s_delay_alu instid0(VALU_DEP_2) | instskip(NEXT) | instid1(VALU_DEP_4)
	v_cndmask_b32_e32 v17, v27, v24, vcc_lo
	v_cndmask_b32_e32 v21, v26, v23, vcc_lo
	v_cmp_ne_u32_e32 vcc_lo, 0, v16
	v_xor_b32_e32 v16, s26, v25
	s_delay_alu instid0(VALU_DEP_3) | instskip(SKIP_2) | instid1(VALU_DEP_3)
	v_cndmask_b32_e32 v3, v3, v21, vcc_lo
	v_cndmask_b32_e32 v17, v20, v17, vcc_lo
	v_xor_b32_e32 v20, s27, v25
	v_xor_b32_e32 v3, v3, v16
	s_delay_alu instid0(VALU_DEP_2) | instskip(NEXT) | instid1(VALU_DEP_2)
	v_xor_b32_e32 v17, v17, v20
	v_sub_co_u32 v16, vcc_lo, v3, v16
	s_delay_alu instid0(VALU_DEP_2)
	v_sub_co_ci_u32_e32 v17, vcc_lo, v17, v20, vcc_lo
.LBB8_61:                               ;   in Loop: Header=BB8_54 Depth=4
	s_and_not1_saveexec_b32 s4, s31
	s_cbranch_execz .LBB8_63
; %bb.62:                               ;   in Loop: Header=BB8_54 Depth=4
	s_waitcnt_depctr 0xfff
	v_mul_f32_e32 v3, 0x4f7ffffe, v22
	s_sub_i32 s26, 0, s41
	s_delay_alu instid0(VALU_DEP_1) | instskip(NEXT) | instid1(VALU_DEP_1)
	v_cvt_u32_f32_e32 v3, v3
	v_mul_lo_u32 v16, s26, v3
	s_delay_alu instid0(VALU_DEP_1) | instskip(NEXT) | instid1(VALU_DEP_1)
	v_mul_hi_u32 v16, v3, v16
	v_add_nc_u32_e32 v3, v3, v16
	s_delay_alu instid0(VALU_DEP_1) | instskip(NEXT) | instid1(VALU_DEP_1)
	v_mul_hi_u32 v3, v7, v3
	v_mul_lo_u32 v16, v3, s41
	v_add_nc_u32_e32 v17, 1, v3
	s_delay_alu instid0(VALU_DEP_2) | instskip(NEXT) | instid1(VALU_DEP_1)
	v_sub_nc_u32_e32 v16, v7, v16
	v_subrev_nc_u32_e32 v20, s41, v16
	v_cmp_le_u32_e32 vcc_lo, s41, v16
	s_delay_alu instid0(VALU_DEP_2) | instskip(NEXT) | instid1(VALU_DEP_1)
	v_dual_cndmask_b32 v16, v16, v20 :: v_dual_cndmask_b32 v3, v3, v17
	v_cmp_le_u32_e32 vcc_lo, s41, v16
	s_delay_alu instid0(VALU_DEP_2) | instskip(NEXT) | instid1(VALU_DEP_1)
	v_add_nc_u32_e32 v17, 1, v3
	v_dual_cndmask_b32 v16, v3, v17 :: v_dual_mov_b32 v17, v2
.LBB8_63:                               ;   in Loop: Header=BB8_54 Depth=4
	s_or_b32 exec_lo, exec_lo, s4
	s_delay_alu instid0(VALU_DEP_1) | instskip(NEXT) | instid1(VALU_DEP_2)
	v_mul_lo_u32 v3, v17, s41
	v_mul_lo_u32 v17, v16, s45
	v_mad_u64_u32 v[20:21], null, v16, s41, 0
	s_mov_b32 s4, exec_lo
	s_delay_alu instid0(VALU_DEP_1) | instskip(NEXT) | instid1(VALU_DEP_2)
	v_add3_u32 v3, v21, v17, v3
	v_sub_co_u32 v20, vcc_lo, v7, v20
	s_delay_alu instid0(VALU_DEP_2) | instskip(NEXT) | instid1(VALU_DEP_2)
	v_sub_co_ci_u32_e32 v3, vcc_lo, v18, v3, vcc_lo
	v_mul_lo_u32 v21, v20, s17
	v_mad_u64_u32 v[17:18], null, v20, s37, 0
	s_delay_alu instid0(VALU_DEP_3) | instskip(NEXT) | instid1(VALU_DEP_1)
	v_mul_lo_u32 v3, v3, s37
	v_add3_u32 v18, v18, v21, v3
                                        ; implicit-def: $vgpr20_vgpr21
	s_delay_alu instid0(VALU_DEP_1) | instskip(NEXT) | instid1(VALU_DEP_1)
	v_or_b32_e32 v3, s45, v18
	v_cmpx_ne_u64_e32 0, v[2:3]
	s_xor_b32 s31, exec_lo, s4
	s_cbranch_execz .LBB8_65
; %bb.64:                               ;   in Loop: Header=BB8_54 Depth=4
	s_add_u32 s28, s41, s45
	s_mov_b32 s26, s45
	s_mov_b32 s27, s45
	s_addc_u32 s29, s45, s45
	s_delay_alu instid0(SALU_CYCLE_1) | instskip(NEXT) | instid1(SALU_CYCLE_1)
	s_xor_b64 s[28:29], s[28:29], s[26:27]
	v_cvt_f32_u32_e32 v3, s28
	v_cvt_f32_u32_e32 v20, s29
	s_sub_u32 s4, 0, s28
	s_subb_u32 s27, 0, s29
	s_delay_alu instid0(VALU_DEP_1) | instskip(NEXT) | instid1(VALU_DEP_1)
	v_fmac_f32_e32 v3, 0x4f800000, v20
	v_rcp_f32_e32 v3, v3
	s_waitcnt_depctr 0xfff
	v_mul_f32_e32 v3, 0x5f7ffffc, v3
	s_delay_alu instid0(VALU_DEP_1) | instskip(NEXT) | instid1(VALU_DEP_1)
	v_mul_f32_e32 v20, 0x2f800000, v3
	v_trunc_f32_e32 v20, v20
	s_delay_alu instid0(VALU_DEP_1) | instskip(SKIP_1) | instid1(VALU_DEP_2)
	v_fmac_f32_e32 v3, 0xcf800000, v20
	v_cvt_u32_f32_e32 v20, v20
	v_cvt_u32_f32_e32 v3, v3
	s_delay_alu instid0(VALU_DEP_2) | instskip(NEXT) | instid1(VALU_DEP_2)
	v_mul_lo_u32 v21, s4, v20
	v_mul_hi_u32 v22, s4, v3
	v_mul_lo_u32 v23, s27, v3
	s_delay_alu instid0(VALU_DEP_2) | instskip(SKIP_1) | instid1(VALU_DEP_2)
	v_add_nc_u32_e32 v21, v22, v21
	v_mul_lo_u32 v22, s4, v3
	v_add_nc_u32_e32 v21, v21, v23
	s_delay_alu instid0(VALU_DEP_2) | instskip(NEXT) | instid1(VALU_DEP_2)
	v_mul_hi_u32 v23, v3, v22
	v_mul_lo_u32 v24, v3, v21
	v_mul_hi_u32 v25, v3, v21
	v_mul_hi_u32 v26, v20, v22
	v_mul_lo_u32 v22, v20, v22
	v_mul_hi_u32 v27, v20, v21
	v_mul_lo_u32 v21, v20, v21
	v_add_co_u32 v23, vcc_lo, v23, v24
	v_add_co_ci_u32_e32 v24, vcc_lo, 0, v25, vcc_lo
	s_delay_alu instid0(VALU_DEP_2) | instskip(NEXT) | instid1(VALU_DEP_2)
	v_add_co_u32 v22, vcc_lo, v23, v22
	v_add_co_ci_u32_e32 v22, vcc_lo, v24, v26, vcc_lo
	v_add_co_ci_u32_e32 v23, vcc_lo, 0, v27, vcc_lo
	v_ashrrev_i32_e32 v26, 31, v18
	s_delay_alu instid0(VALU_DEP_3) | instskip(NEXT) | instid1(VALU_DEP_3)
	v_add_co_u32 v21, vcc_lo, v22, v21
	v_add_co_ci_u32_e32 v22, vcc_lo, 0, v23, vcc_lo
	s_delay_alu instid0(VALU_DEP_2) | instskip(NEXT) | instid1(VALU_DEP_2)
	v_add_co_u32 v3, vcc_lo, v3, v21
	v_add_co_ci_u32_e32 v20, vcc_lo, v20, v22, vcc_lo
	s_delay_alu instid0(VALU_DEP_2) | instskip(SKIP_1) | instid1(VALU_DEP_3)
	v_mul_hi_u32 v21, s4, v3
	v_mul_lo_u32 v23, s27, v3
	v_mul_lo_u32 v22, s4, v20
	s_delay_alu instid0(VALU_DEP_1) | instskip(SKIP_1) | instid1(VALU_DEP_2)
	v_add_nc_u32_e32 v21, v21, v22
	v_mul_lo_u32 v22, s4, v3
	v_add_nc_u32_e32 v21, v21, v23
	s_delay_alu instid0(VALU_DEP_2) | instskip(NEXT) | instid1(VALU_DEP_2)
	v_mul_hi_u32 v23, v3, v22
	v_mul_lo_u32 v24, v3, v21
	v_mul_hi_u32 v25, v3, v21
	v_mul_hi_u32 v27, v20, v22
	v_mul_lo_u32 v22, v20, v22
	v_mul_hi_u32 v28, v20, v21
	v_mul_lo_u32 v21, v20, v21
	v_add_co_u32 v23, vcc_lo, v23, v24
	v_add_co_ci_u32_e32 v24, vcc_lo, 0, v25, vcc_lo
	s_delay_alu instid0(VALU_DEP_2) | instskip(NEXT) | instid1(VALU_DEP_2)
	v_add_co_u32 v22, vcc_lo, v23, v22
	v_add_co_ci_u32_e32 v22, vcc_lo, v24, v27, vcc_lo
	v_add_co_ci_u32_e32 v23, vcc_lo, 0, v28, vcc_lo
	v_add_co_u32 v17, vcc_lo, v17, v26
	v_add_co_ci_u32_e32 v18, vcc_lo, v18, v26, vcc_lo
	s_delay_alu instid0(VALU_DEP_4) | instskip(NEXT) | instid1(VALU_DEP_4)
	v_add_co_u32 v21, vcc_lo, v22, v21
	v_add_co_ci_u32_e32 v22, vcc_lo, 0, v23, vcc_lo
	s_delay_alu instid0(VALU_DEP_4) | instskip(NEXT) | instid1(VALU_DEP_3)
	v_xor_b32_e32 v24, v17, v26
	v_add_co_u32 v3, vcc_lo, v3, v21
	s_delay_alu instid0(VALU_DEP_3) | instskip(SKIP_1) | instid1(VALU_DEP_3)
	v_add_co_ci_u32_e32 v25, vcc_lo, v20, v22, vcc_lo
	v_xor_b32_e32 v27, v18, v26
	v_mul_hi_u32 v28, v24, v3
	s_delay_alu instid0(VALU_DEP_3) | instskip(NEXT) | instid1(VALU_DEP_3)
	v_mad_u64_u32 v[17:18], null, v24, v25, 0
	v_mad_u64_u32 v[20:21], null, v27, v3, 0
	;; [unrolled: 1-line block ×3, first 2 shown]
	s_delay_alu instid0(VALU_DEP_3) | instskip(NEXT) | instid1(VALU_DEP_4)
	v_add_co_u32 v3, vcc_lo, v28, v17
	v_add_co_ci_u32_e32 v17, vcc_lo, 0, v18, vcc_lo
	s_delay_alu instid0(VALU_DEP_2) | instskip(NEXT) | instid1(VALU_DEP_2)
	v_add_co_u32 v3, vcc_lo, v3, v20
	v_add_co_ci_u32_e32 v3, vcc_lo, v17, v21, vcc_lo
	v_add_co_ci_u32_e32 v17, vcc_lo, 0, v23, vcc_lo
	s_delay_alu instid0(VALU_DEP_2) | instskip(NEXT) | instid1(VALU_DEP_2)
	v_add_co_u32 v3, vcc_lo, v3, v22
	v_add_co_ci_u32_e32 v20, vcc_lo, 0, v17, vcc_lo
	s_delay_alu instid0(VALU_DEP_2) | instskip(SKIP_1) | instid1(VALU_DEP_3)
	v_mul_lo_u32 v21, s29, v3
	v_mad_u64_u32 v[17:18], null, s28, v3, 0
	v_mul_lo_u32 v20, s28, v20
	s_delay_alu instid0(VALU_DEP_2) | instskip(NEXT) | instid1(VALU_DEP_2)
	v_sub_co_u32 v17, vcc_lo, v24, v17
	v_add3_u32 v18, v18, v20, v21
	v_add_co_u32 v21, s4, v3, 2
	s_delay_alu instid0(VALU_DEP_2) | instskip(NEXT) | instid1(VALU_DEP_1)
	v_sub_nc_u32_e32 v20, v27, v18
	v_subrev_co_ci_u32_e64 v20, s4, s29, v20, vcc_lo
	v_sub_co_u32 v22, s4, v17, s28
	v_sub_co_ci_u32_e32 v18, vcc_lo, v27, v18, vcc_lo
	s_delay_alu instid0(VALU_DEP_3) | instskip(NEXT) | instid1(VALU_DEP_3)
	v_subrev_co_ci_u32_e64 v20, s4, 0, v20, s4
	v_cmp_le_u32_e32 vcc_lo, s28, v22
	v_cndmask_b32_e64 v22, 0, -1, vcc_lo
	s_delay_alu instid0(VALU_DEP_3)
	v_cmp_le_u32_e32 vcc_lo, s29, v20
	v_cndmask_b32_e64 v23, 0, -1, vcc_lo
	v_cmp_le_u32_e32 vcc_lo, s28, v17
	v_cndmask_b32_e64 v17, 0, -1, vcc_lo
	;; [unrolled: 2-line block ×3, first 2 shown]
	v_cmp_eq_u32_e32 vcc_lo, s29, v20
	v_cndmask_b32_e32 v20, v23, v22, vcc_lo
	v_add_co_u32 v22, vcc_lo, v3, 1
	v_cmp_eq_u32_e32 vcc_lo, s29, v18
	v_cndmask_b32_e32 v17, v24, v17, vcc_lo
	s_delay_alu instid0(VALU_DEP_4) | instskip(NEXT) | instid1(VALU_DEP_4)
	v_cmp_ne_u32_e32 vcc_lo, 0, v20
	v_cndmask_b32_e32 v18, v22, v21, vcc_lo
	s_delay_alu instid0(VALU_DEP_3) | instskip(SKIP_1) | instid1(VALU_DEP_3)
	v_cmp_ne_u32_e32 vcc_lo, 0, v17
	v_xor_b32_e32 v17, s26, v26
                                        ; implicit-def: $vgpr22
	v_cndmask_b32_e32 v3, v3, v18, vcc_lo
	s_delay_alu instid0(VALU_DEP_1) | instskip(NEXT) | instid1(VALU_DEP_1)
	v_xor_b32_e32 v3, v3, v17
	v_sub_co_u32 v20, vcc_lo, v3, v17
                                        ; implicit-def: $vgpr17_vgpr18
.LBB8_65:                               ;   in Loop: Header=BB8_54 Depth=4
	s_and_not1_saveexec_b32 s4, s31
	s_cbranch_execz .LBB8_67
; %bb.66:                               ;   in Loop: Header=BB8_54 Depth=4
	v_mul_f32_e32 v3, 0x4f7ffffe, v22
	s_sub_i32 s26, 0, s41
	s_delay_alu instid0(VALU_DEP_1) | instskip(NEXT) | instid1(VALU_DEP_1)
	v_cvt_u32_f32_e32 v3, v3
	v_mul_lo_u32 v18, s26, v3
	s_delay_alu instid0(VALU_DEP_1) | instskip(NEXT) | instid1(VALU_DEP_1)
	v_mul_hi_u32 v18, v3, v18
	v_add_nc_u32_e32 v3, v3, v18
	s_delay_alu instid0(VALU_DEP_1) | instskip(NEXT) | instid1(VALU_DEP_1)
	v_mul_hi_u32 v3, v17, v3
	v_mul_lo_u32 v18, v3, s41
	s_delay_alu instid0(VALU_DEP_1) | instskip(NEXT) | instid1(VALU_DEP_1)
	v_sub_nc_u32_e32 v17, v17, v18
	v_subrev_nc_u32_e32 v20, s41, v17
	v_cmp_le_u32_e32 vcc_lo, s41, v17
	s_delay_alu instid0(VALU_DEP_2) | instskip(NEXT) | instid1(VALU_DEP_1)
	v_dual_cndmask_b32 v17, v17, v20 :: v_dual_add_nc_u32 v18, 1, v3
	v_cndmask_b32_e32 v3, v3, v18, vcc_lo
	s_delay_alu instid0(VALU_DEP_2) | instskip(NEXT) | instid1(VALU_DEP_2)
	v_cmp_le_u32_e32 vcc_lo, s41, v17
	v_add_nc_u32_e32 v18, 1, v3
	s_delay_alu instid0(VALU_DEP_1)
	v_cndmask_b32_e32 v20, v3, v18, vcc_lo
.LBB8_67:                               ;   in Loop: Header=BB8_54 Depth=4
	s_or_b32 exec_lo, exec_lo, s4
	global_load_b64 v[17:18], v[13:14], off
	v_mad_u64_u32 v[21:22], null, v16, s37, v[20:21]
	v_ashrrev_i32_e32 v16, 31, v15
	v_dual_mov_b32 v25, v9 :: v_dual_mov_b32 v24, v8
	s_mov_b32 s31, 0
	s_delay_alu instid0(VALU_DEP_3) | instskip(NEXT) | instid1(VALU_DEP_3)
	v_sub_nc_u32_e32 v3, v19, v21
	v_lshlrev_b64 v[21:22], 3, v[15:16]
	s_delay_alu instid0(VALU_DEP_2) | instskip(NEXT) | instid1(VALU_DEP_2)
	v_mad_u64_u32 v[19:20], null, v0, v3, v[0:1]
	v_add_co_u32 v20, vcc_lo, s22, v21
	s_delay_alu instid0(VALU_DEP_3)
	v_add_co_ci_u32_e32 v21, vcc_lo, s23, v22, vcc_lo
	v_dual_mov_b32 v23, v11 :: v_dual_mov_b32 v22, v10
	s_branch .LBB8_69
.LBB8_68:                               ;   in Loop: Header=BB8_69 Depth=5
	s_or_b32 exec_lo, exec_lo, s4
	global_load_b64 v[28:29], v[20:21], off
	v_mad_u64_u32 v[40:41], null, v27, s40, v[30:31]
	v_add_co_u32 v22, s4, v22, s40
	s_delay_alu instid0(VALU_DEP_1) | instskip(NEXT) | instid1(VALU_DEP_3)
	v_add_co_ci_u32_e64 v23, s4, s33, v23, s4
	v_sub_nc_u32_e32 v3, v26, v40
	s_delay_alu instid0(VALU_DEP_1) | instskip(NEXT) | instid1(VALU_DEP_1)
	v_mad_u64_u32 v[26:27], null, v19, v3, v[19:20]
	v_cvt_f64_i32_e32 v[26:27], v26
	s_waitcnt vmcnt(0)
	s_delay_alu instid0(VALU_DEP_1) | instskip(NEXT) | instid1(VALU_DEP_1)
	v_div_scale_f64 v[30:31], null, v[26:27], v[26:27], v[28:29]
	v_rcp_f64_e32 v[40:41], v[30:31]
	s_waitcnt_depctr 0xfff
	v_fma_f64 v[42:43], -v[30:31], v[40:41], 1.0
	s_delay_alu instid0(VALU_DEP_1) | instskip(NEXT) | instid1(VALU_DEP_1)
	v_fma_f64 v[40:41], v[40:41], v[42:43], v[40:41]
	v_fma_f64 v[42:43], -v[30:31], v[40:41], 1.0
	s_delay_alu instid0(VALU_DEP_1) | instskip(SKIP_1) | instid1(VALU_DEP_1)
	v_fma_f64 v[40:41], v[40:41], v[42:43], v[40:41]
	v_div_scale_f64 v[42:43], vcc_lo, v[28:29], v[26:27], v[28:29]
	v_mul_f64 v[44:45], v[42:43], v[40:41]
	s_delay_alu instid0(VALU_DEP_1) | instskip(NEXT) | instid1(VALU_DEP_1)
	v_fma_f64 v[30:31], -v[30:31], v[44:45], v[42:43]
	v_div_fmas_f64 v[30:31], v[30:31], v[40:41], v[44:45]
	v_add_co_u32 v24, vcc_lo, v24, 1
	v_add_co_ci_u32_e32 v25, vcc_lo, 0, v25, vcc_lo
	v_add_co_u32 v20, vcc_lo, v20, 8
	v_add_co_ci_u32_e32 v21, vcc_lo, 0, v21, vcc_lo
	s_delay_alu instid0(VALU_DEP_4) | instskip(SKIP_2) | instid1(VALU_DEP_1)
	v_cmp_ge_i32_e32 vcc_lo, v24, v39
	s_or_b32 s31, vcc_lo, s31
	v_div_fixup_f64 v[26:27], v[30:31], v[26:27], v[28:29]
	v_add_f64 v[17:18], v[17:18], v[26:27]
	global_store_b64 v[13:14], v[17:18], off
	s_and_not1_b32 exec_lo, exec_lo, s31
	s_cbranch_execz .LBB8_53
.LBB8_69:                               ;   Parent Loop BB8_12 Depth=1
                                        ;     Parent Loop BB8_27 Depth=2
                                        ;       Parent Loop BB8_42 Depth=3
                                        ;         Parent Loop BB8_54 Depth=4
                                        ; =>        This Inner Loop Header: Depth=5
	s_delay_alu instid0(VALU_DEP_1) | instskip(SKIP_1) | instid1(VALU_DEP_1)
	v_or_b32_e32 v3, s46, v23
                                        ; implicit-def: $vgpr26_vgpr27
	s_mov_b32 s4, exec_lo
	v_cmpx_ne_u64_e32 0, v[2:3]
	s_xor_b32 s34, exec_lo, s4
	s_cbranch_execz .LBB8_71
; %bb.70:                               ;   in Loop: Header=BB8_69 Depth=5
	s_add_u32 s28, s42, s46
	s_mov_b32 s26, s46
	s_mov_b32 s27, s46
	s_addc_u32 s29, s46, s46
	s_delay_alu instid0(SALU_CYCLE_1) | instskip(NEXT) | instid1(SALU_CYCLE_1)
	s_xor_b64 s[28:29], s[28:29], s[26:27]
	v_cvt_f32_u32_e32 v3, s28
	v_cvt_f32_u32_e32 v16, s29
	s_sub_u32 s4, 0, s28
	s_subb_u32 s27, 0, s29
	s_delay_alu instid0(VALU_DEP_1) | instskip(NEXT) | instid1(VALU_DEP_1)
	v_fmac_f32_e32 v3, 0x4f800000, v16
	v_rcp_f32_e32 v3, v3
	s_waitcnt_depctr 0xfff
	v_mul_f32_e32 v3, 0x5f7ffffc, v3
	s_delay_alu instid0(VALU_DEP_1) | instskip(NEXT) | instid1(VALU_DEP_1)
	v_mul_f32_e32 v16, 0x2f800000, v3
	v_trunc_f32_e32 v16, v16
	s_delay_alu instid0(VALU_DEP_1) | instskip(SKIP_1) | instid1(VALU_DEP_2)
	v_fmac_f32_e32 v3, 0xcf800000, v16
	v_cvt_u32_f32_e32 v16, v16
	v_cvt_u32_f32_e32 v3, v3
	s_delay_alu instid0(VALU_DEP_2) | instskip(NEXT) | instid1(VALU_DEP_2)
	v_mul_lo_u32 v26, s4, v16
	v_mul_hi_u32 v27, s4, v3
	v_mul_lo_u32 v28, s27, v3
	s_delay_alu instid0(VALU_DEP_2) | instskip(SKIP_1) | instid1(VALU_DEP_2)
	v_add_nc_u32_e32 v26, v27, v26
	v_mul_lo_u32 v27, s4, v3
	v_add_nc_u32_e32 v26, v26, v28
	s_delay_alu instid0(VALU_DEP_2) | instskip(NEXT) | instid1(VALU_DEP_2)
	v_mul_hi_u32 v28, v3, v27
	v_mul_lo_u32 v29, v3, v26
	v_mul_hi_u32 v30, v3, v26
	v_mul_hi_u32 v31, v16, v27
	v_mul_lo_u32 v27, v16, v27
	v_mul_hi_u32 v40, v16, v26
	v_mul_lo_u32 v26, v16, v26
	v_add_co_u32 v28, vcc_lo, v28, v29
	v_add_co_ci_u32_e32 v29, vcc_lo, 0, v30, vcc_lo
	s_delay_alu instid0(VALU_DEP_2) | instskip(NEXT) | instid1(VALU_DEP_2)
	v_add_co_u32 v27, vcc_lo, v28, v27
	v_add_co_ci_u32_e32 v27, vcc_lo, v29, v31, vcc_lo
	v_add_co_ci_u32_e32 v28, vcc_lo, 0, v40, vcc_lo
	v_ashrrev_i32_e32 v40, 31, v23
	s_delay_alu instid0(VALU_DEP_3) | instskip(NEXT) | instid1(VALU_DEP_3)
	v_add_co_u32 v26, vcc_lo, v27, v26
	v_add_co_ci_u32_e32 v27, vcc_lo, 0, v28, vcc_lo
	s_delay_alu instid0(VALU_DEP_2) | instskip(NEXT) | instid1(VALU_DEP_2)
	v_add_co_u32 v3, vcc_lo, v3, v26
	v_add_co_ci_u32_e32 v16, vcc_lo, v16, v27, vcc_lo
	s_delay_alu instid0(VALU_DEP_2) | instskip(SKIP_1) | instid1(VALU_DEP_3)
	v_mul_hi_u32 v26, s4, v3
	v_mul_lo_u32 v28, s27, v3
	v_mul_lo_u32 v27, s4, v16
	s_delay_alu instid0(VALU_DEP_1) | instskip(SKIP_1) | instid1(VALU_DEP_2)
	v_add_nc_u32_e32 v26, v26, v27
	v_mul_lo_u32 v27, s4, v3
	v_add_nc_u32_e32 v26, v26, v28
	s_delay_alu instid0(VALU_DEP_2) | instskip(NEXT) | instid1(VALU_DEP_2)
	v_mul_hi_u32 v28, v3, v27
	v_mul_lo_u32 v29, v3, v26
	v_mul_hi_u32 v30, v3, v26
	v_mul_hi_u32 v31, v16, v27
	v_mul_lo_u32 v27, v16, v27
	v_mul_hi_u32 v41, v16, v26
	v_mul_lo_u32 v26, v16, v26
	v_add_co_u32 v28, vcc_lo, v28, v29
	v_add_co_ci_u32_e32 v29, vcc_lo, 0, v30, vcc_lo
	s_delay_alu instid0(VALU_DEP_2) | instskip(NEXT) | instid1(VALU_DEP_2)
	v_add_co_u32 v27, vcc_lo, v28, v27
	v_add_co_ci_u32_e32 v27, vcc_lo, v29, v31, vcc_lo
	v_add_co_ci_u32_e32 v28, vcc_lo, 0, v41, vcc_lo
	v_add_co_u32 v29, vcc_lo, v22, v40
	v_add_co_ci_u32_e32 v30, vcc_lo, v23, v40, vcc_lo
	s_delay_alu instid0(VALU_DEP_4) | instskip(NEXT) | instid1(VALU_DEP_4)
	v_add_co_u32 v26, vcc_lo, v27, v26
	v_add_co_ci_u32_e32 v27, vcc_lo, 0, v28, vcc_lo
	s_delay_alu instid0(VALU_DEP_4) | instskip(NEXT) | instid1(VALU_DEP_3)
	v_xor_b32_e32 v41, v29, v40
	v_add_co_u32 v3, vcc_lo, v3, v26
	s_delay_alu instid0(VALU_DEP_3) | instskip(SKIP_1) | instid1(VALU_DEP_3)
	v_add_co_ci_u32_e32 v16, vcc_lo, v16, v27, vcc_lo
	v_xor_b32_e32 v42, v30, v40
	v_mul_hi_u32 v43, v41, v3
	s_delay_alu instid0(VALU_DEP_3) | instskip(NEXT) | instid1(VALU_DEP_3)
	v_mad_u64_u32 v[26:27], null, v41, v16, 0
	v_mad_u64_u32 v[28:29], null, v42, v3, 0
	;; [unrolled: 1-line block ×3, first 2 shown]
	s_delay_alu instid0(VALU_DEP_3) | instskip(NEXT) | instid1(VALU_DEP_4)
	v_add_co_u32 v3, vcc_lo, v43, v26
	v_add_co_ci_u32_e32 v16, vcc_lo, 0, v27, vcc_lo
	s_delay_alu instid0(VALU_DEP_2) | instskip(NEXT) | instid1(VALU_DEP_2)
	v_add_co_u32 v3, vcc_lo, v3, v28
	v_add_co_ci_u32_e32 v3, vcc_lo, v16, v29, vcc_lo
	v_add_co_ci_u32_e32 v16, vcc_lo, 0, v31, vcc_lo
	s_delay_alu instid0(VALU_DEP_2) | instskip(NEXT) | instid1(VALU_DEP_2)
	v_add_co_u32 v3, vcc_lo, v3, v30
	v_add_co_ci_u32_e32 v16, vcc_lo, 0, v16, vcc_lo
	s_delay_alu instid0(VALU_DEP_2) | instskip(SKIP_1) | instid1(VALU_DEP_3)
	v_mul_lo_u32 v28, s29, v3
	v_mad_u64_u32 v[26:27], null, s28, v3, 0
	v_mul_lo_u32 v16, s28, v16
	s_delay_alu instid0(VALU_DEP_2) | instskip(NEXT) | instid1(VALU_DEP_2)
	v_sub_co_u32 v26, vcc_lo, v41, v26
	v_add3_u32 v16, v27, v16, v28
	v_add_co_u32 v28, s4, v3, 2
	s_delay_alu instid0(VALU_DEP_2) | instskip(NEXT) | instid1(VALU_DEP_1)
	v_sub_nc_u32_e32 v27, v42, v16
	v_subrev_co_ci_u32_e64 v27, s4, s29, v27, vcc_lo
	v_sub_co_u32 v29, s4, v26, s28
	v_sub_co_ci_u32_e32 v16, vcc_lo, v42, v16, vcc_lo
	s_delay_alu instid0(VALU_DEP_3) | instskip(NEXT) | instid1(VALU_DEP_3)
	v_subrev_co_ci_u32_e64 v27, s4, 0, v27, s4
	v_cmp_le_u32_e32 vcc_lo, s28, v29
	v_cndmask_b32_e64 v29, 0, -1, vcc_lo
	s_delay_alu instid0(VALU_DEP_3)
	v_cmp_le_u32_e32 vcc_lo, s29, v27
	v_cndmask_b32_e64 v30, 0, -1, vcc_lo
	v_cmp_le_u32_e32 vcc_lo, s28, v26
	v_cndmask_b32_e64 v26, 0, -1, vcc_lo
	;; [unrolled: 2-line block ×3, first 2 shown]
	v_cmp_eq_u32_e32 vcc_lo, s29, v27
	v_cndmask_b32_e32 v27, v30, v29, vcc_lo
	v_add_co_u32 v29, vcc_lo, v3, 1
	v_cmp_eq_u32_e32 vcc_lo, s29, v16
	v_cndmask_b32_e32 v16, v31, v26, vcc_lo
	s_delay_alu instid0(VALU_DEP_4) | instskip(NEXT) | instid1(VALU_DEP_4)
	v_cmp_ne_u32_e32 vcc_lo, 0, v27
	v_cndmask_b32_e32 v26, v29, v28, vcc_lo
	s_delay_alu instid0(VALU_DEP_3) | instskip(SKIP_1) | instid1(VALU_DEP_3)
	v_cmp_ne_u32_e32 vcc_lo, 0, v16
	v_xor_b32_e32 v16, s26, v40
	v_cndmask_b32_e32 v3, v3, v26, vcc_lo
	s_delay_alu instid0(VALU_DEP_1) | instskip(NEXT) | instid1(VALU_DEP_1)
	v_xor_b32_e32 v3, v3, v16
	v_sub_co_u32 v26, vcc_lo, v3, v16
.LBB8_71:                               ;   in Loop: Header=BB8_69 Depth=5
	s_or_saveexec_b32 s4, s34
	v_cvt_f32_u32_e32 v16, s42
	s_xor_b32 exec_lo, exec_lo, s4
	s_cbranch_execz .LBB8_73
; %bb.72:                               ;   in Loop: Header=BB8_69 Depth=5
	s_delay_alu instid0(VALU_DEP_1) | instskip(SKIP_3) | instid1(VALU_DEP_1)
	v_rcp_iflag_f32_e32 v3, v16
	s_sub_i32 s26, 0, s42
	s_waitcnt_depctr 0xfff
	v_mul_f32_e32 v3, 0x4f7ffffe, v3
	v_cvt_u32_f32_e32 v3, v3
	s_delay_alu instid0(VALU_DEP_1) | instskip(NEXT) | instid1(VALU_DEP_1)
	v_mul_lo_u32 v26, s26, v3
	v_mul_hi_u32 v26, v3, v26
	s_delay_alu instid0(VALU_DEP_1) | instskip(NEXT) | instid1(VALU_DEP_1)
	v_add_nc_u32_e32 v3, v3, v26
	v_mul_hi_u32 v3, v22, v3
	s_delay_alu instid0(VALU_DEP_1) | instskip(SKIP_1) | instid1(VALU_DEP_2)
	v_mul_lo_u32 v26, v3, s42
	v_add_nc_u32_e32 v27, 1, v3
	v_sub_nc_u32_e32 v26, v22, v26
	s_delay_alu instid0(VALU_DEP_1) | instskip(SKIP_1) | instid1(VALU_DEP_2)
	v_subrev_nc_u32_e32 v28, s42, v26
	v_cmp_le_u32_e32 vcc_lo, s42, v26
	v_dual_cndmask_b32 v26, v26, v28 :: v_dual_cndmask_b32 v3, v3, v27
	s_delay_alu instid0(VALU_DEP_1) | instskip(NEXT) | instid1(VALU_DEP_2)
	v_cmp_le_u32_e32 vcc_lo, s42, v26
	v_add_nc_u32_e32 v27, 1, v3
	s_delay_alu instid0(VALU_DEP_1)
	v_cndmask_b32_e32 v26, v3, v27, vcc_lo
.LBB8_73:                               ;   in Loop: Header=BB8_69 Depth=5
	s_or_b32 exec_lo, exec_lo, s4
	v_or_b32_e32 v3, s46, v25
                                        ; implicit-def: $vgpr27_vgpr28
	s_mov_b32 s4, exec_lo
	s_delay_alu instid0(VALU_DEP_1)
	v_cmpx_ne_u64_e32 0, v[2:3]
	s_xor_b32 s34, exec_lo, s4
	s_cbranch_execz .LBB8_75
; %bb.74:                               ;   in Loop: Header=BB8_69 Depth=5
	s_add_u32 s28, s42, s46
	s_mov_b32 s26, s46
	s_mov_b32 s27, s46
	s_addc_u32 s29, s46, s46
	s_delay_alu instid0(SALU_CYCLE_1) | instskip(NEXT) | instid1(SALU_CYCLE_1)
	s_xor_b64 s[28:29], s[28:29], s[26:27]
	v_cvt_f32_u32_e32 v3, s28
	v_cvt_f32_u32_e32 v27, s29
	s_sub_u32 s4, 0, s28
	s_subb_u32 s35, 0, s29
	s_delay_alu instid0(VALU_DEP_1) | instskip(NEXT) | instid1(VALU_DEP_1)
	v_fmac_f32_e32 v3, 0x4f800000, v27
	v_rcp_f32_e32 v3, v3
	s_waitcnt_depctr 0xfff
	v_mul_f32_e32 v3, 0x5f7ffffc, v3
	s_delay_alu instid0(VALU_DEP_1) | instskip(NEXT) | instid1(VALU_DEP_1)
	v_mul_f32_e32 v27, 0x2f800000, v3
	v_trunc_f32_e32 v27, v27
	s_delay_alu instid0(VALU_DEP_1) | instskip(SKIP_1) | instid1(VALU_DEP_2)
	v_fmac_f32_e32 v3, 0xcf800000, v27
	v_cvt_u32_f32_e32 v27, v27
	v_cvt_u32_f32_e32 v3, v3
	s_delay_alu instid0(VALU_DEP_2) | instskip(NEXT) | instid1(VALU_DEP_2)
	v_mul_lo_u32 v28, s4, v27
	v_mul_hi_u32 v29, s4, v3
	v_mul_lo_u32 v30, s35, v3
	s_delay_alu instid0(VALU_DEP_2) | instskip(SKIP_1) | instid1(VALU_DEP_2)
	v_add_nc_u32_e32 v28, v29, v28
	v_mul_lo_u32 v29, s4, v3
	v_add_nc_u32_e32 v28, v28, v30
	s_delay_alu instid0(VALU_DEP_2) | instskip(NEXT) | instid1(VALU_DEP_2)
	v_mul_hi_u32 v30, v3, v29
	v_mul_lo_u32 v31, v3, v28
	v_mul_hi_u32 v40, v3, v28
	v_mul_hi_u32 v41, v27, v29
	v_mul_lo_u32 v29, v27, v29
	v_mul_hi_u32 v42, v27, v28
	v_mul_lo_u32 v28, v27, v28
	v_add_co_u32 v30, vcc_lo, v30, v31
	v_add_co_ci_u32_e32 v31, vcc_lo, 0, v40, vcc_lo
	s_delay_alu instid0(VALU_DEP_2) | instskip(NEXT) | instid1(VALU_DEP_2)
	v_add_co_u32 v29, vcc_lo, v30, v29
	v_add_co_ci_u32_e32 v29, vcc_lo, v31, v41, vcc_lo
	v_add_co_ci_u32_e32 v30, vcc_lo, 0, v42, vcc_lo
	v_ashrrev_i32_e32 v42, 31, v25
	s_delay_alu instid0(VALU_DEP_3) | instskip(NEXT) | instid1(VALU_DEP_3)
	v_add_co_u32 v28, vcc_lo, v29, v28
	v_add_co_ci_u32_e32 v29, vcc_lo, 0, v30, vcc_lo
	s_delay_alu instid0(VALU_DEP_2) | instskip(NEXT) | instid1(VALU_DEP_2)
	v_add_co_u32 v3, vcc_lo, v3, v28
	v_add_co_ci_u32_e32 v27, vcc_lo, v27, v29, vcc_lo
	s_delay_alu instid0(VALU_DEP_2) | instskip(SKIP_1) | instid1(VALU_DEP_3)
	v_mul_hi_u32 v28, s4, v3
	v_mul_lo_u32 v30, s35, v3
	v_mul_lo_u32 v29, s4, v27
	s_delay_alu instid0(VALU_DEP_1) | instskip(SKIP_1) | instid1(VALU_DEP_2)
	v_add_nc_u32_e32 v28, v28, v29
	v_mul_lo_u32 v29, s4, v3
	v_add_nc_u32_e32 v28, v28, v30
	s_delay_alu instid0(VALU_DEP_2) | instskip(NEXT) | instid1(VALU_DEP_2)
	v_mul_hi_u32 v30, v3, v29
	v_mul_lo_u32 v31, v3, v28
	v_mul_hi_u32 v40, v3, v28
	v_mul_hi_u32 v41, v27, v29
	v_mul_lo_u32 v29, v27, v29
	v_mul_hi_u32 v43, v27, v28
	v_mul_lo_u32 v28, v27, v28
	v_add_co_u32 v30, vcc_lo, v30, v31
	v_add_co_ci_u32_e32 v31, vcc_lo, 0, v40, vcc_lo
	s_delay_alu instid0(VALU_DEP_2) | instskip(NEXT) | instid1(VALU_DEP_2)
	v_add_co_u32 v29, vcc_lo, v30, v29
	v_add_co_ci_u32_e32 v29, vcc_lo, v31, v41, vcc_lo
	v_add_co_ci_u32_e32 v30, vcc_lo, 0, v43, vcc_lo
	v_add_co_u32 v31, vcc_lo, v24, v42
	v_add_co_ci_u32_e32 v40, vcc_lo, v25, v42, vcc_lo
	s_delay_alu instid0(VALU_DEP_4) | instskip(NEXT) | instid1(VALU_DEP_4)
	v_add_co_u32 v28, vcc_lo, v29, v28
	v_add_co_ci_u32_e32 v29, vcc_lo, 0, v30, vcc_lo
	s_delay_alu instid0(VALU_DEP_4) | instskip(NEXT) | instid1(VALU_DEP_3)
	v_xor_b32_e32 v31, v31, v42
	v_add_co_u32 v3, vcc_lo, v3, v28
	s_delay_alu instid0(VALU_DEP_3) | instskip(SKIP_1) | instid1(VALU_DEP_3)
	v_add_co_ci_u32_e32 v43, vcc_lo, v27, v29, vcc_lo
	v_xor_b32_e32 v44, v40, v42
	v_mul_hi_u32 v45, v31, v3
	s_delay_alu instid0(VALU_DEP_3) | instskip(NEXT) | instid1(VALU_DEP_3)
	v_mad_u64_u32 v[27:28], null, v31, v43, 0
	v_mad_u64_u32 v[29:30], null, v44, v3, 0
	;; [unrolled: 1-line block ×3, first 2 shown]
	s_delay_alu instid0(VALU_DEP_3) | instskip(NEXT) | instid1(VALU_DEP_4)
	v_add_co_u32 v3, vcc_lo, v45, v27
	v_add_co_ci_u32_e32 v27, vcc_lo, 0, v28, vcc_lo
	s_delay_alu instid0(VALU_DEP_2) | instskip(NEXT) | instid1(VALU_DEP_2)
	v_add_co_u32 v3, vcc_lo, v3, v29
	v_add_co_ci_u32_e32 v3, vcc_lo, v27, v30, vcc_lo
	v_add_co_ci_u32_e32 v27, vcc_lo, 0, v41, vcc_lo
	s_delay_alu instid0(VALU_DEP_2) | instskip(NEXT) | instid1(VALU_DEP_2)
	v_add_co_u32 v3, vcc_lo, v3, v40
	v_add_co_ci_u32_e32 v29, vcc_lo, 0, v27, vcc_lo
	s_delay_alu instid0(VALU_DEP_2) | instskip(SKIP_1) | instid1(VALU_DEP_3)
	v_mul_lo_u32 v30, s29, v3
	v_mad_u64_u32 v[27:28], null, s28, v3, 0
	v_mul_lo_u32 v40, s28, v29
	s_delay_alu instid0(VALU_DEP_2) | instskip(NEXT) | instid1(VALU_DEP_2)
	v_sub_co_u32 v27, vcc_lo, v31, v27
	v_add3_u32 v28, v28, v40, v30
	s_delay_alu instid0(VALU_DEP_1) | instskip(NEXT) | instid1(VALU_DEP_1)
	v_sub_nc_u32_e32 v30, v44, v28
	v_subrev_co_ci_u32_e64 v30, s4, s29, v30, vcc_lo
	v_add_co_u32 v31, s4, v3, 2
	s_delay_alu instid0(VALU_DEP_1) | instskip(SKIP_3) | instid1(VALU_DEP_3)
	v_add_co_ci_u32_e64 v40, s4, 0, v29, s4
	v_sub_co_u32 v41, s4, v27, s28
	v_sub_co_ci_u32_e32 v28, vcc_lo, v44, v28, vcc_lo
	v_subrev_co_ci_u32_e64 v30, s4, 0, v30, s4
	v_cmp_le_u32_e32 vcc_lo, s28, v41
	s_delay_alu instid0(VALU_DEP_3) | instskip(SKIP_1) | instid1(VALU_DEP_4)
	v_cmp_eq_u32_e64 s4, s29, v28
	v_cndmask_b32_e64 v41, 0, -1, vcc_lo
	v_cmp_le_u32_e32 vcc_lo, s29, v30
	v_cndmask_b32_e64 v43, 0, -1, vcc_lo
	v_cmp_le_u32_e32 vcc_lo, s28, v27
	;; [unrolled: 2-line block ×3, first 2 shown]
	v_cndmask_b32_e64 v44, 0, -1, vcc_lo
	v_cmp_eq_u32_e32 vcc_lo, s29, v30
	s_delay_alu instid0(VALU_DEP_2) | instskip(SKIP_3) | instid1(VALU_DEP_3)
	v_cndmask_b32_e64 v27, v44, v27, s4
	v_cndmask_b32_e32 v30, v43, v41, vcc_lo
	v_add_co_u32 v41, vcc_lo, v3, 1
	v_add_co_ci_u32_e32 v43, vcc_lo, 0, v29, vcc_lo
	v_cmp_ne_u32_e32 vcc_lo, 0, v30
	s_delay_alu instid0(VALU_DEP_2) | instskip(NEXT) | instid1(VALU_DEP_4)
	v_cndmask_b32_e32 v28, v43, v40, vcc_lo
	v_cndmask_b32_e32 v30, v41, v31, vcc_lo
	v_cmp_ne_u32_e32 vcc_lo, 0, v27
	v_xor_b32_e32 v27, s26, v42
	s_delay_alu instid0(VALU_DEP_3) | instskip(SKIP_1) | instid1(VALU_DEP_2)
	v_dual_cndmask_b32 v28, v29, v28 :: v_dual_cndmask_b32 v3, v3, v30
	v_xor_b32_e32 v29, s27, v42
	v_xor_b32_e32 v3, v3, v27
	s_delay_alu instid0(VALU_DEP_2) | instskip(NEXT) | instid1(VALU_DEP_2)
	v_xor_b32_e32 v28, v28, v29
	v_sub_co_u32 v27, vcc_lo, v3, v27
	s_delay_alu instid0(VALU_DEP_2)
	v_sub_co_ci_u32_e32 v28, vcc_lo, v28, v29, vcc_lo
.LBB8_75:                               ;   in Loop: Header=BB8_69 Depth=5
	s_and_not1_saveexec_b32 s4, s34
	s_cbranch_execz .LBB8_77
; %bb.76:                               ;   in Loop: Header=BB8_69 Depth=5
	v_rcp_iflag_f32_e32 v3, v16
	s_sub_i32 s26, 0, s42
	s_waitcnt_depctr 0xfff
	v_mul_f32_e32 v3, 0x4f7ffffe, v3
	s_delay_alu instid0(VALU_DEP_1) | instskip(NEXT) | instid1(VALU_DEP_1)
	v_cvt_u32_f32_e32 v3, v3
	v_mul_lo_u32 v27, s26, v3
	s_delay_alu instid0(VALU_DEP_1) | instskip(NEXT) | instid1(VALU_DEP_1)
	v_mul_hi_u32 v27, v3, v27
	v_add_nc_u32_e32 v3, v3, v27
	s_delay_alu instid0(VALU_DEP_1) | instskip(NEXT) | instid1(VALU_DEP_1)
	v_mul_hi_u32 v3, v24, v3
	v_mul_lo_u32 v27, v3, s42
	s_delay_alu instid0(VALU_DEP_1) | instskip(NEXT) | instid1(VALU_DEP_1)
	v_sub_nc_u32_e32 v27, v24, v27
	v_subrev_nc_u32_e32 v29, s42, v27
	v_cmp_le_u32_e32 vcc_lo, s42, v27
	s_delay_alu instid0(VALU_DEP_2) | instskip(NEXT) | instid1(VALU_DEP_1)
	v_dual_cndmask_b32 v27, v27, v29 :: v_dual_add_nc_u32 v28, 1, v3
	v_cndmask_b32_e32 v3, v3, v28, vcc_lo
	s_delay_alu instid0(VALU_DEP_2) | instskip(NEXT) | instid1(VALU_DEP_2)
	v_cmp_le_u32_e32 vcc_lo, s42, v27
	v_add_nc_u32_e32 v28, 1, v3
	s_delay_alu instid0(VALU_DEP_1)
	v_dual_cndmask_b32 v27, v3, v28 :: v_dual_mov_b32 v28, v2
.LBB8_77:                               ;   in Loop: Header=BB8_69 Depth=5
	s_or_b32 exec_lo, exec_lo, s4
	s_delay_alu instid0(VALU_DEP_1) | instskip(NEXT) | instid1(VALU_DEP_2)
	v_mul_lo_u32 v3, v28, s42
	v_mul_lo_u32 v30, v27, s46
	v_mad_u64_u32 v[28:29], null, v27, s42, 0
	s_mov_b32 s4, exec_lo
	s_delay_alu instid0(VALU_DEP_1) | instskip(NEXT) | instid1(VALU_DEP_2)
	v_add3_u32 v3, v29, v30, v3
	v_sub_co_u32 v30, vcc_lo, v24, v28
	s_delay_alu instid0(VALU_DEP_2) | instskip(NEXT) | instid1(VALU_DEP_2)
	v_sub_co_ci_u32_e32 v3, vcc_lo, v25, v3, vcc_lo
	v_mul_lo_u32 v31, v30, s33
	v_mad_u64_u32 v[28:29], null, v30, s40, 0
	s_delay_alu instid0(VALU_DEP_3) | instskip(NEXT) | instid1(VALU_DEP_1)
	v_mul_lo_u32 v3, v3, s40
	v_add3_u32 v29, v29, v31, v3
                                        ; implicit-def: $vgpr30_vgpr31
	s_delay_alu instid0(VALU_DEP_1) | instskip(NEXT) | instid1(VALU_DEP_1)
	v_or_b32_e32 v3, s46, v29
	v_cmpx_ne_u64_e32 0, v[2:3]
	s_xor_b32 s34, exec_lo, s4
	s_cbranch_execz .LBB8_79
; %bb.78:                               ;   in Loop: Header=BB8_69 Depth=5
	s_add_u32 s28, s42, s46
	s_mov_b32 s26, s46
	s_mov_b32 s27, s46
	s_addc_u32 s29, s46, s46
	s_delay_alu instid0(SALU_CYCLE_1) | instskip(NEXT) | instid1(SALU_CYCLE_1)
	s_xor_b64 s[28:29], s[28:29], s[26:27]
	v_cvt_f32_u32_e32 v3, s28
	v_cvt_f32_u32_e32 v16, s29
	s_sub_u32 s4, 0, s28
	s_subb_u32 s27, 0, s29
	s_delay_alu instid0(VALU_DEP_1) | instskip(NEXT) | instid1(VALU_DEP_1)
	v_fmac_f32_e32 v3, 0x4f800000, v16
	v_rcp_f32_e32 v3, v3
	s_waitcnt_depctr 0xfff
	v_mul_f32_e32 v3, 0x5f7ffffc, v3
	s_delay_alu instid0(VALU_DEP_1) | instskip(NEXT) | instid1(VALU_DEP_1)
	v_mul_f32_e32 v16, 0x2f800000, v3
	v_trunc_f32_e32 v16, v16
	s_delay_alu instid0(VALU_DEP_1) | instskip(SKIP_1) | instid1(VALU_DEP_2)
	v_fmac_f32_e32 v3, 0xcf800000, v16
	v_cvt_u32_f32_e32 v16, v16
	v_cvt_u32_f32_e32 v3, v3
	s_delay_alu instid0(VALU_DEP_2) | instskip(NEXT) | instid1(VALU_DEP_2)
	v_mul_lo_u32 v30, s4, v16
	v_mul_hi_u32 v31, s4, v3
	v_mul_lo_u32 v40, s27, v3
	s_delay_alu instid0(VALU_DEP_2) | instskip(SKIP_1) | instid1(VALU_DEP_2)
	v_add_nc_u32_e32 v30, v31, v30
	v_mul_lo_u32 v31, s4, v3
	v_add_nc_u32_e32 v30, v30, v40
	s_delay_alu instid0(VALU_DEP_2) | instskip(NEXT) | instid1(VALU_DEP_2)
	v_mul_hi_u32 v40, v3, v31
	v_mul_lo_u32 v41, v3, v30
	v_mul_hi_u32 v42, v3, v30
	v_mul_hi_u32 v43, v16, v31
	v_mul_lo_u32 v31, v16, v31
	v_mul_hi_u32 v44, v16, v30
	v_mul_lo_u32 v30, v16, v30
	v_add_co_u32 v40, vcc_lo, v40, v41
	v_add_co_ci_u32_e32 v41, vcc_lo, 0, v42, vcc_lo
	s_delay_alu instid0(VALU_DEP_2) | instskip(NEXT) | instid1(VALU_DEP_2)
	v_add_co_u32 v31, vcc_lo, v40, v31
	v_add_co_ci_u32_e32 v31, vcc_lo, v41, v43, vcc_lo
	v_add_co_ci_u32_e32 v40, vcc_lo, 0, v44, vcc_lo
	v_ashrrev_i32_e32 v43, 31, v29
	s_delay_alu instid0(VALU_DEP_3) | instskip(NEXT) | instid1(VALU_DEP_3)
	v_add_co_u32 v30, vcc_lo, v31, v30
	v_add_co_ci_u32_e32 v31, vcc_lo, 0, v40, vcc_lo
	s_delay_alu instid0(VALU_DEP_2) | instskip(NEXT) | instid1(VALU_DEP_2)
	v_add_co_u32 v3, vcc_lo, v3, v30
	v_add_co_ci_u32_e32 v16, vcc_lo, v16, v31, vcc_lo
	s_delay_alu instid0(VALU_DEP_2) | instskip(SKIP_1) | instid1(VALU_DEP_3)
	v_mul_hi_u32 v30, s4, v3
	v_mul_lo_u32 v40, s27, v3
	v_mul_lo_u32 v31, s4, v16
	s_delay_alu instid0(VALU_DEP_1) | instskip(SKIP_1) | instid1(VALU_DEP_2)
	v_add_nc_u32_e32 v30, v30, v31
	v_mul_lo_u32 v31, s4, v3
	v_add_nc_u32_e32 v30, v30, v40
	s_delay_alu instid0(VALU_DEP_2) | instskip(NEXT) | instid1(VALU_DEP_2)
	v_mul_hi_u32 v40, v3, v31
	v_mul_lo_u32 v41, v3, v30
	v_mul_hi_u32 v42, v3, v30
	v_mul_hi_u32 v44, v16, v31
	v_mul_lo_u32 v31, v16, v31
	v_mul_hi_u32 v45, v16, v30
	v_mul_lo_u32 v30, v16, v30
	v_add_co_u32 v40, vcc_lo, v40, v41
	v_add_co_ci_u32_e32 v41, vcc_lo, 0, v42, vcc_lo
	s_delay_alu instid0(VALU_DEP_2) | instskip(NEXT) | instid1(VALU_DEP_2)
	v_add_co_u32 v31, vcc_lo, v40, v31
	v_add_co_ci_u32_e32 v31, vcc_lo, v41, v44, vcc_lo
	v_add_co_ci_u32_e32 v40, vcc_lo, 0, v45, vcc_lo
	v_add_co_u32 v28, vcc_lo, v28, v43
	v_add_co_ci_u32_e32 v29, vcc_lo, v29, v43, vcc_lo
	s_delay_alu instid0(VALU_DEP_4) | instskip(NEXT) | instid1(VALU_DEP_4)
	v_add_co_u32 v30, vcc_lo, v31, v30
	v_add_co_ci_u32_e32 v31, vcc_lo, 0, v40, vcc_lo
	s_delay_alu instid0(VALU_DEP_4) | instskip(NEXT) | instid1(VALU_DEP_3)
	v_xor_b32_e32 v42, v28, v43
	v_add_co_u32 v3, vcc_lo, v3, v30
	s_delay_alu instid0(VALU_DEP_3) | instskip(SKIP_1) | instid1(VALU_DEP_3)
	v_add_co_ci_u32_e32 v16, vcc_lo, v16, v31, vcc_lo
	v_xor_b32_e32 v44, v29, v43
	v_mul_hi_u32 v45, v42, v3
	s_delay_alu instid0(VALU_DEP_3) | instskip(NEXT) | instid1(VALU_DEP_3)
	v_mad_u64_u32 v[28:29], null, v42, v16, 0
	v_mad_u64_u32 v[30:31], null, v44, v3, 0
	;; [unrolled: 1-line block ×3, first 2 shown]
	s_delay_alu instid0(VALU_DEP_3) | instskip(NEXT) | instid1(VALU_DEP_4)
	v_add_co_u32 v3, vcc_lo, v45, v28
	v_add_co_ci_u32_e32 v16, vcc_lo, 0, v29, vcc_lo
	s_delay_alu instid0(VALU_DEP_2) | instskip(NEXT) | instid1(VALU_DEP_2)
	v_add_co_u32 v3, vcc_lo, v3, v30
	v_add_co_ci_u32_e32 v3, vcc_lo, v16, v31, vcc_lo
	v_add_co_ci_u32_e32 v16, vcc_lo, 0, v41, vcc_lo
	s_delay_alu instid0(VALU_DEP_2) | instskip(NEXT) | instid1(VALU_DEP_2)
	v_add_co_u32 v3, vcc_lo, v3, v40
	v_add_co_ci_u32_e32 v16, vcc_lo, 0, v16, vcc_lo
	s_delay_alu instid0(VALU_DEP_2) | instskip(SKIP_1) | instid1(VALU_DEP_3)
	v_mul_lo_u32 v30, s29, v3
	v_mad_u64_u32 v[28:29], null, s28, v3, 0
	v_mul_lo_u32 v16, s28, v16
	s_delay_alu instid0(VALU_DEP_2) | instskip(NEXT) | instid1(VALU_DEP_2)
	v_sub_co_u32 v28, vcc_lo, v42, v28
	v_add3_u32 v16, v29, v16, v30
	v_add_co_u32 v30, s4, v3, 2
	s_delay_alu instid0(VALU_DEP_2) | instskip(NEXT) | instid1(VALU_DEP_1)
	v_sub_nc_u32_e32 v29, v44, v16
	v_subrev_co_ci_u32_e64 v29, s4, s29, v29, vcc_lo
	v_sub_co_u32 v31, s4, v28, s28
	v_sub_co_ci_u32_e32 v16, vcc_lo, v44, v16, vcc_lo
	s_delay_alu instid0(VALU_DEP_3) | instskip(NEXT) | instid1(VALU_DEP_3)
	v_subrev_co_ci_u32_e64 v29, s4, 0, v29, s4
	v_cmp_le_u32_e32 vcc_lo, s28, v31
	v_cndmask_b32_e64 v31, 0, -1, vcc_lo
	s_delay_alu instid0(VALU_DEP_3)
	v_cmp_le_u32_e32 vcc_lo, s29, v29
	v_cndmask_b32_e64 v40, 0, -1, vcc_lo
	v_cmp_le_u32_e32 vcc_lo, s28, v28
	v_cndmask_b32_e64 v28, 0, -1, vcc_lo
	;; [unrolled: 2-line block ×3, first 2 shown]
	v_cmp_eq_u32_e32 vcc_lo, s29, v29
	v_cndmask_b32_e32 v29, v40, v31, vcc_lo
	v_add_co_u32 v31, vcc_lo, v3, 1
	v_cmp_eq_u32_e32 vcc_lo, s29, v16
	v_cndmask_b32_e32 v16, v41, v28, vcc_lo
	s_delay_alu instid0(VALU_DEP_4) | instskip(NEXT) | instid1(VALU_DEP_4)
	v_cmp_ne_u32_e32 vcc_lo, 0, v29
	v_cndmask_b32_e32 v28, v31, v30, vcc_lo
	s_delay_alu instid0(VALU_DEP_3) | instskip(SKIP_1) | instid1(VALU_DEP_3)
	v_cmp_ne_u32_e32 vcc_lo, 0, v16
	v_xor_b32_e32 v16, s26, v43
	v_cndmask_b32_e32 v3, v3, v28, vcc_lo
                                        ; implicit-def: $vgpr28_vgpr29
	s_delay_alu instid0(VALU_DEP_1) | instskip(NEXT) | instid1(VALU_DEP_1)
	v_xor_b32_e32 v3, v3, v16
	v_sub_co_u32 v30, vcc_lo, v3, v16
                                        ; implicit-def: $vgpr16
.LBB8_79:                               ;   in Loop: Header=BB8_69 Depth=5
	s_and_not1_saveexec_b32 s4, s34
	s_cbranch_execz .LBB8_68
; %bb.80:                               ;   in Loop: Header=BB8_69 Depth=5
	v_rcp_iflag_f32_e32 v3, v16
	s_sub_i32 s26, 0, s42
	s_waitcnt_depctr 0xfff
	v_mul_f32_e32 v3, 0x4f7ffffe, v3
	s_delay_alu instid0(VALU_DEP_1) | instskip(NEXT) | instid1(VALU_DEP_1)
	v_cvt_u32_f32_e32 v3, v3
	v_mul_lo_u32 v16, s26, v3
	s_delay_alu instid0(VALU_DEP_1) | instskip(NEXT) | instid1(VALU_DEP_1)
	v_mul_hi_u32 v16, v3, v16
	v_add_nc_u32_e32 v3, v3, v16
	s_delay_alu instid0(VALU_DEP_1) | instskip(NEXT) | instid1(VALU_DEP_1)
	v_mul_hi_u32 v3, v28, v3
	v_mul_lo_u32 v16, v3, s42
	s_delay_alu instid0(VALU_DEP_1) | instskip(SKIP_1) | instid1(VALU_DEP_2)
	v_sub_nc_u32_e32 v16, v28, v16
	v_add_nc_u32_e32 v28, 1, v3
	v_subrev_nc_u32_e32 v29, s42, v16
	v_cmp_le_u32_e32 vcc_lo, s42, v16
	s_delay_alu instid0(VALU_DEP_2) | instskip(NEXT) | instid1(VALU_DEP_1)
	v_dual_cndmask_b32 v16, v16, v29 :: v_dual_cndmask_b32 v3, v3, v28
	v_cmp_le_u32_e32 vcc_lo, s42, v16
	s_delay_alu instid0(VALU_DEP_2) | instskip(NEXT) | instid1(VALU_DEP_1)
	v_add_nc_u32_e32 v28, 1, v3
	v_cndmask_b32_e32 v30, v3, v28, vcc_lo
	s_branch .LBB8_68
.LBB8_81:                               ;   in Loop: Header=BB8_42 Depth=3
                                        ; implicit-def: $vgpr15_vgpr16
	v_cvt_f32_u32_e32 v0, s12
	s_branch .LBB8_44
.LBB8_82:                               ;   in Loop: Header=BB8_42 Depth=3
                                        ; implicit-def: $sgpr26_sgpr27
	s_branch .LBB8_47
.LBB8_83:                               ;   in Loop: Header=BB8_42 Depth=3
                                        ; implicit-def: $vgpr16_vgpr17
	s_branch .LBB8_50
.LBB8_84:
	s_nop 0
	s_sendmsg sendmsg(MSG_DEALLOC_VGPRS)
	s_endpgm
.LBB8_85:
                                        ; implicit-def: $sgpr20_sgpr21
	v_cvt_f32_u32_e32 v1, s10
	s_branch .LBB8_2
.LBB8_86:
                                        ; implicit-def: $sgpr16_sgpr17
	s_branch .LBB8_5
.LBB8_87:
                                        ; implicit-def: $vgpr3_vgpr4
	s_load_b32 s2, s[0:1], 0x3c
	s_branch .LBB8_8
	.section	.rodata,"a",@progbits
	.p2align	6, 0x0
	.amdhsa_kernel _ZN2at6native12_GLOBAL__N_124adaptiveaveragegradinputIddEEvPT_PKS3_iiiiiil
		.amdhsa_group_segment_fixed_size 0
		.amdhsa_private_segment_fixed_size 0
		.amdhsa_kernarg_size 304
		.amdhsa_user_sgpr_count 14
		.amdhsa_user_sgpr_dispatch_ptr 0
		.amdhsa_user_sgpr_queue_ptr 0
		.amdhsa_user_sgpr_kernarg_segment_ptr 1
		.amdhsa_user_sgpr_dispatch_id 0
		.amdhsa_user_sgpr_private_segment_size 0
		.amdhsa_wavefront_size32 1
		.amdhsa_uses_dynamic_stack 0
		.amdhsa_enable_private_segment 0
		.amdhsa_system_sgpr_workgroup_id_x 1
		.amdhsa_system_sgpr_workgroup_id_y 1
		.amdhsa_system_sgpr_workgroup_id_z 0
		.amdhsa_system_sgpr_workgroup_info 0
		.amdhsa_system_vgpr_workitem_id 1
		.amdhsa_next_free_vgpr 46
		.amdhsa_next_free_sgpr 56
		.amdhsa_reserve_vcc 1
		.amdhsa_float_round_mode_32 0
		.amdhsa_float_round_mode_16_64 0
		.amdhsa_float_denorm_mode_32 3
		.amdhsa_float_denorm_mode_16_64 3
		.amdhsa_dx10_clamp 1
		.amdhsa_ieee_mode 1
		.amdhsa_fp16_overflow 0
		.amdhsa_workgroup_processor_mode 1
		.amdhsa_memory_ordered 1
		.amdhsa_forward_progress 0
		.amdhsa_shared_vgpr_count 0
		.amdhsa_exception_fp_ieee_invalid_op 0
		.amdhsa_exception_fp_denorm_src 0
		.amdhsa_exception_fp_ieee_div_zero 0
		.amdhsa_exception_fp_ieee_overflow 0
		.amdhsa_exception_fp_ieee_underflow 0
		.amdhsa_exception_fp_ieee_inexact 0
		.amdhsa_exception_int_div_zero 0
	.end_amdhsa_kernel
	.section	.text._ZN2at6native12_GLOBAL__N_124adaptiveaveragegradinputIddEEvPT_PKS3_iiiiiil,"axG",@progbits,_ZN2at6native12_GLOBAL__N_124adaptiveaveragegradinputIddEEvPT_PKS3_iiiiiil,comdat
.Lfunc_end8:
	.size	_ZN2at6native12_GLOBAL__N_124adaptiveaveragegradinputIddEEvPT_PKS3_iiiiiil, .Lfunc_end8-_ZN2at6native12_GLOBAL__N_124adaptiveaveragegradinputIddEEvPT_PKS3_iiiiiil
                                        ; -- End function
	.section	.AMDGPU.csdata,"",@progbits
; Kernel info:
; codeLenInByte = 17424
; NumSgprs: 58
; NumVgprs: 46
; ScratchSize: 0
; MemoryBound: 0
; FloatMode: 240
; IeeeMode: 1
; LDSByteSize: 0 bytes/workgroup (compile time only)
; SGPRBlocks: 7
; VGPRBlocks: 5
; NumSGPRsForWavesPerEU: 58
; NumVGPRsForWavesPerEU: 46
; Occupancy: 16
; WaveLimiterHint : 0
; COMPUTE_PGM_RSRC2:SCRATCH_EN: 0
; COMPUTE_PGM_RSRC2:USER_SGPR: 14
; COMPUTE_PGM_RSRC2:TRAP_HANDLER: 0
; COMPUTE_PGM_RSRC2:TGID_X_EN: 1
; COMPUTE_PGM_RSRC2:TGID_Y_EN: 1
; COMPUTE_PGM_RSRC2:TGID_Z_EN: 0
; COMPUTE_PGM_RSRC2:TIDIG_COMP_CNT: 1
	.section	.text._ZN2at6native12_GLOBAL__N_124adaptiveaveragegradinputIffEEvPT_PKS3_iiiiiil,"axG",@progbits,_ZN2at6native12_GLOBAL__N_124adaptiveaveragegradinputIffEEvPT_PKS3_iiiiiil,comdat
	.globl	_ZN2at6native12_GLOBAL__N_124adaptiveaveragegradinputIffEEvPT_PKS3_iiiiiil ; -- Begin function _ZN2at6native12_GLOBAL__N_124adaptiveaveragegradinputIffEEvPT_PKS3_iiiiiil
	.p2align	8
	.type	_ZN2at6native12_GLOBAL__N_124adaptiveaveragegradinputIffEEvPT_PKS3_iiiiiil,@function
_ZN2at6native12_GLOBAL__N_124adaptiveaveragegradinputIffEEvPT_PKS3_iiiiiil: ; @_ZN2at6native12_GLOBAL__N_124adaptiveaveragegradinputIffEEvPT_PKS3_iiiiiil
; %bb.0:
	s_load_b256 s[4:11], s[0:1], 0x10
	s_waitcnt lgkmcnt(0)
	s_add_u32 s18, s14, s10
	s_addc_u32 s19, 0, s11
	s_ashr_i32 s11, s4, 31
	s_mov_b32 s10, s4
	s_delay_alu instid0(SALU_CYCLE_1) | instskip(SKIP_1) | instid1(SALU_CYCLE_1)
	s_or_b64 s[2:3], s[18:19], s[10:11]
	s_mov_b32 s2, 0
	s_cmp_lg_u64 s[2:3], 0
	s_cbranch_scc0 .LBB9_85
; %bb.1:
	s_add_u32 s16, s10, s11
	s_mov_b32 s12, s11
	s_mov_b32 s13, s11
	s_addc_u32 s17, s11, s11
	s_delay_alu instid0(SALU_CYCLE_1) | instskip(NEXT) | instid1(SALU_CYCLE_1)
	s_xor_b64 s[16:17], s[16:17], s[12:13]
	v_cvt_f32_u32_e32 v1, s16
	v_cvt_f32_u32_e32 v2, s17
	s_sub_u32 s14, 0, s16
	s_subb_u32 s20, 0, s17
	s_delay_alu instid0(VALU_DEP_1) | instskip(NEXT) | instid1(VALU_DEP_1)
	v_fmamk_f32 v1, v2, 0x4f800000, v1
	v_rcp_f32_e32 v1, v1
	s_waitcnt_depctr 0xfff
	v_mul_f32_e32 v1, 0x5f7ffffc, v1
	s_delay_alu instid0(VALU_DEP_1) | instskip(NEXT) | instid1(VALU_DEP_1)
	v_mul_f32_e32 v2, 0x2f800000, v1
	v_trunc_f32_e32 v2, v2
	s_delay_alu instid0(VALU_DEP_1) | instskip(SKIP_1) | instid1(VALU_DEP_2)
	v_fmamk_f32 v1, v2, 0xcf800000, v1
	v_cvt_u32_f32_e32 v2, v2
	v_cvt_u32_f32_e32 v1, v1
	s_delay_alu instid0(VALU_DEP_2) | instskip(NEXT) | instid1(VALU_DEP_2)
	v_readfirstlane_b32 s3, v2
	v_readfirstlane_b32 s4, v1
	s_delay_alu instid0(VALU_DEP_2) | instskip(NEXT) | instid1(VALU_DEP_1)
	s_mul_i32 s21, s14, s3
	s_mul_hi_u32 s23, s14, s4
	s_mul_i32 s22, s20, s4
	s_add_i32 s21, s23, s21
	s_mul_i32 s24, s14, s4
	s_add_i32 s21, s21, s22
	s_mul_hi_u32 s23, s4, s24
	s_mul_hi_u32 s25, s3, s24
	s_mul_i32 s22, s3, s24
	s_mul_hi_u32 s24, s4, s21
	s_mul_i32 s4, s4, s21
	s_mul_hi_u32 s26, s3, s21
	s_add_u32 s4, s23, s4
	s_addc_u32 s23, 0, s24
	s_add_u32 s4, s4, s22
	s_mul_i32 s21, s3, s21
	s_addc_u32 s4, s23, s25
	s_addc_u32 s22, s26, 0
	s_add_u32 s4, s4, s21
	s_addc_u32 s21, 0, s22
	v_add_co_u32 v1, s4, v1, s4
	s_delay_alu instid0(VALU_DEP_1) | instskip(SKIP_1) | instid1(VALU_DEP_1)
	s_cmp_lg_u32 s4, 0
	s_addc_u32 s3, s3, s21
	v_readfirstlane_b32 s4, v1
	s_mul_i32 s21, s14, s3
	s_delay_alu instid0(VALU_DEP_1)
	s_mul_hi_u32 s22, s14, s4
	s_mul_i32 s20, s20, s4
	s_add_i32 s21, s22, s21
	s_mul_i32 s14, s14, s4
	s_add_i32 s21, s21, s20
	s_mul_hi_u32 s22, s3, s14
	s_mul_i32 s23, s3, s14
	s_mul_hi_u32 s14, s4, s14
	s_mul_hi_u32 s24, s4, s21
	s_mul_i32 s4, s4, s21
	s_mul_hi_u32 s20, s3, s21
	s_add_u32 s4, s14, s4
	s_addc_u32 s14, 0, s24
	s_add_u32 s4, s4, s23
	s_mul_i32 s21, s3, s21
	s_addc_u32 s4, s14, s22
	s_addc_u32 s14, s20, 0
	s_add_u32 s4, s4, s21
	s_addc_u32 s14, 0, s14
	v_add_co_u32 v1, s4, v1, s4
	s_delay_alu instid0(VALU_DEP_1) | instskip(SKIP_2) | instid1(VALU_DEP_1)
	s_cmp_lg_u32 s4, 0
	s_addc_u32 s3, s3, s14
	s_ashr_i32 s20, s19, 31
	v_readfirstlane_b32 s4, v1
	s_add_u32 s22, s18, s20
	s_mov_b32 s21, s20
	s_addc_u32 s23, s19, s20
	s_delay_alu instid0(SALU_CYCLE_1) | instskip(NEXT) | instid1(SALU_CYCLE_1)
	s_xor_b64 s[22:23], s[22:23], s[20:21]
	s_mul_i32 s24, s22, s3
	s_mul_hi_u32 s25, s22, s4
	s_mul_hi_u32 s14, s22, s3
	;; [unrolled: 1-line block ×3, first 2 shown]
	s_mul_i32 s4, s23, s4
	s_add_u32 s24, s25, s24
	s_addc_u32 s14, 0, s14
	s_mul_hi_u32 s26, s23, s3
	s_add_u32 s4, s24, s4
	s_mul_i32 s3, s23, s3
	s_addc_u32 s4, s14, s27
	s_addc_u32 s14, s26, 0
	s_add_u32 s3, s4, s3
	s_addc_u32 s4, 0, s14
	s_mul_i32 s26, s16, s3
	s_mul_hi_u32 s14, s16, s3
	s_mul_i32 s25, s16, s4
	v_sub_co_u32 v1, s22, s22, s26
	s_mul_i32 s24, s17, s3
	s_add_i32 s14, s14, s25
	s_delay_alu instid0(SALU_CYCLE_1) | instskip(NEXT) | instid1(VALU_DEP_1)
	s_add_i32 s14, s14, s24
	v_sub_co_u32 v2, s25, v1, s16
	s_sub_i32 s24, s23, s14
	s_cmp_lg_u32 s22, 0
	s_subb_u32 s24, s24, s17
	s_cmp_lg_u32 s25, 0
	v_readfirstlane_b32 s25, v2
	s_subb_u32 s24, s24, 0
	s_delay_alu instid0(SALU_CYCLE_1) | instskip(SKIP_1) | instid1(VALU_DEP_1)
	s_cmp_ge_u32 s24, s17
	s_cselect_b32 s26, -1, 0
	s_cmp_ge_u32 s25, s16
	s_cselect_b32 s25, -1, 0
	s_cmp_eq_u32 s24, s17
	s_cselect_b32 s24, s25, s26
	s_add_u32 s25, s3, 1
	s_addc_u32 s26, s4, 0
	s_add_u32 s27, s3, 2
	s_addc_u32 s28, s4, 0
	s_cmp_lg_u32 s24, 0
	s_cselect_b32 s24, s27, s25
	s_cselect_b32 s25, s28, s26
	s_cmp_lg_u32 s22, 0
	v_readfirstlane_b32 s22, v1
	s_subb_u32 s14, s23, s14
	s_delay_alu instid0(SALU_CYCLE_1) | instskip(SKIP_1) | instid1(VALU_DEP_1)
	s_cmp_ge_u32 s14, s17
	s_cselect_b32 s23, -1, 0
	s_cmp_ge_u32 s22, s16
	s_cselect_b32 s16, -1, 0
	s_cmp_eq_u32 s14, s17
	s_cselect_b32 s14, s16, s23
	s_delay_alu instid0(SALU_CYCLE_1) | instskip(SKIP_3) | instid1(SALU_CYCLE_1)
	s_cmp_lg_u32 s14, 0
	s_cselect_b32 s17, s25, s4
	s_cselect_b32 s16, s24, s3
	s_xor_b64 s[12:13], s[20:21], s[12:13]
	s_xor_b64 s[16:17], s[16:17], s[12:13]
	s_delay_alu instid0(SALU_CYCLE_1)
	s_sub_u32 s20, s16, s12
	s_subb_u32 s21, s17, s13
	v_cvt_f32_u32_e32 v1, s10
	s_and_not1_b32 vcc_lo, exec_lo, s2
	s_cbranch_vccnz .LBB9_3
.LBB9_2:
	s_delay_alu instid0(VALU_DEP_1) | instskip(SKIP_4) | instid1(VALU_DEP_1)
	v_rcp_iflag_f32_e32 v2, v1
	s_sub_i32 s3, 0, s10
	s_mov_b32 s21, 0
	s_waitcnt_depctr 0xfff
	v_mul_f32_e32 v2, 0x4f7ffffe, v2
	v_cvt_u32_f32_e32 v2, v2
	s_delay_alu instid0(VALU_DEP_1) | instskip(NEXT) | instid1(VALU_DEP_1)
	v_readfirstlane_b32 s2, v2
	s_mul_i32 s3, s3, s2
	s_delay_alu instid0(SALU_CYCLE_1) | instskip(NEXT) | instid1(SALU_CYCLE_1)
	s_mul_hi_u32 s3, s2, s3
	s_add_i32 s2, s2, s3
	s_delay_alu instid0(SALU_CYCLE_1) | instskip(NEXT) | instid1(SALU_CYCLE_1)
	s_mul_hi_u32 s2, s18, s2
	s_mul_i32 s3, s2, s10
	s_add_i32 s4, s2, 1
	s_sub_i32 s3, s18, s3
	s_delay_alu instid0(SALU_CYCLE_1)
	s_sub_i32 s12, s3, s10
	s_cmp_ge_u32 s3, s10
	s_cselect_b32 s2, s4, s2
	s_cselect_b32 s3, s12, s3
	s_add_i32 s4, s2, 1
	s_cmp_ge_u32 s3, s10
	s_cselect_b32 s20, s4, s2
.LBB9_3:
	s_delay_alu instid0(SALU_CYCLE_1) | instskip(SKIP_4) | instid1(SALU_CYCLE_1)
	s_mul_i32 s2, s20, s11
	s_mul_hi_u32 s3, s20, s10
	s_mul_i32 s4, s20, s10
	s_add_i32 s2, s3, s2
	s_mul_i32 s3, s21, s10
	s_add_i32 s2, s2, s3
	s_sub_u32 s4, s18, s4
	s_subb_u32 s2, s19, s2
	s_ashr_i32 s13, s7, 31
	s_mul_hi_u32 s12, s4, s7
	s_mul_i32 s3, s4, s13
	s_mul_i32 s2, s2, s7
	s_add_i32 s3, s12, s3
	s_mov_b32 s12, s7
	s_add_i32 s3, s3, s2
	s_mul_i32 s2, s4, s7
	s_delay_alu instid0(SALU_CYCLE_1) | instskip(SKIP_1) | instid1(SALU_CYCLE_1)
	s_or_b64 s[22:23], s[2:3], s[10:11]
	s_mov_b32 s22, 0
	s_cmp_lg_u64 s[22:23], 0
	s_cbranch_scc0 .LBB9_86
; %bb.4:
	s_add_u32 s24, s10, s11
	s_mov_b32 s16, s11
	s_mov_b32 s17, s11
	s_addc_u32 s25, s11, s11
	s_delay_alu instid0(SALU_CYCLE_1) | instskip(NEXT) | instid1(SALU_CYCLE_1)
	s_xor_b64 s[24:25], s[24:25], s[16:17]
	v_cvt_f32_u32_e32 v2, s24
	v_cvt_f32_u32_e32 v3, s25
	s_sub_u32 s21, 0, s24
	s_subb_u32 s23, 0, s25
	s_delay_alu instid0(VALU_DEP_1) | instskip(NEXT) | instid1(VALU_DEP_1)
	v_fmamk_f32 v2, v3, 0x4f800000, v2
	v_rcp_f32_e32 v2, v2
	s_waitcnt_depctr 0xfff
	v_mul_f32_e32 v2, 0x5f7ffffc, v2
	s_delay_alu instid0(VALU_DEP_1) | instskip(NEXT) | instid1(VALU_DEP_1)
	v_mul_f32_e32 v3, 0x2f800000, v2
	v_trunc_f32_e32 v3, v3
	s_delay_alu instid0(VALU_DEP_1) | instskip(SKIP_1) | instid1(VALU_DEP_2)
	v_fmamk_f32 v2, v3, 0xcf800000, v2
	v_cvt_u32_f32_e32 v3, v3
	v_cvt_u32_f32_e32 v2, v2
	s_delay_alu instid0(VALU_DEP_2) | instskip(NEXT) | instid1(VALU_DEP_2)
	v_readfirstlane_b32 s4, v3
	v_readfirstlane_b32 s14, v2
	s_delay_alu instid0(VALU_DEP_2) | instskip(NEXT) | instid1(VALU_DEP_1)
	s_mul_i32 s26, s21, s4
	s_mul_hi_u32 s28, s21, s14
	s_mul_i32 s27, s23, s14
	s_add_i32 s26, s28, s26
	s_mul_i32 s29, s21, s14
	s_add_i32 s26, s26, s27
	s_mul_hi_u32 s28, s14, s29
	s_mul_hi_u32 s30, s4, s29
	s_mul_i32 s27, s4, s29
	s_mul_hi_u32 s29, s14, s26
	s_mul_i32 s14, s14, s26
	s_mul_hi_u32 s31, s4, s26
	s_add_u32 s14, s28, s14
	s_addc_u32 s28, 0, s29
	s_add_u32 s14, s14, s27
	s_mul_i32 s26, s4, s26
	s_addc_u32 s14, s28, s30
	s_addc_u32 s27, s31, 0
	s_add_u32 s14, s14, s26
	s_addc_u32 s26, 0, s27
	v_add_co_u32 v2, s14, v2, s14
	s_delay_alu instid0(VALU_DEP_1) | instskip(SKIP_1) | instid1(VALU_DEP_1)
	s_cmp_lg_u32 s14, 0
	s_addc_u32 s4, s4, s26
	v_readfirstlane_b32 s14, v2
	s_mul_i32 s26, s21, s4
	s_delay_alu instid0(VALU_DEP_1)
	s_mul_hi_u32 s27, s21, s14
	s_mul_i32 s23, s23, s14
	s_add_i32 s26, s27, s26
	s_mul_i32 s21, s21, s14
	s_add_i32 s26, s26, s23
	s_mul_hi_u32 s27, s4, s21
	s_mul_i32 s28, s4, s21
	s_mul_hi_u32 s21, s14, s21
	s_mul_hi_u32 s29, s14, s26
	s_mul_i32 s14, s14, s26
	s_mul_hi_u32 s23, s4, s26
	s_add_u32 s14, s21, s14
	s_addc_u32 s21, 0, s29
	s_add_u32 s14, s14, s28
	s_mul_i32 s26, s4, s26
	s_addc_u32 s14, s21, s27
	s_addc_u32 s21, s23, 0
	s_add_u32 s14, s14, s26
	s_addc_u32 s21, 0, s21
	v_add_co_u32 v2, s14, v2, s14
	s_delay_alu instid0(VALU_DEP_1) | instskip(SKIP_2) | instid1(VALU_DEP_1)
	s_cmp_lg_u32 s14, 0
	s_addc_u32 s4, s4, s21
	s_ashr_i32 s26, s3, 31
	v_readfirstlane_b32 s14, v2
	s_add_u32 s28, s2, s26
	s_mov_b32 s27, s26
	s_addc_u32 s29, s3, s26
	s_delay_alu instid0(SALU_CYCLE_1) | instskip(NEXT) | instid1(SALU_CYCLE_1)
	s_xor_b64 s[28:29], s[28:29], s[26:27]
	s_mul_i32 s23, s28, s4
	s_mul_hi_u32 s30, s28, s14
	s_mul_hi_u32 s21, s28, s4
	;; [unrolled: 1-line block ×3, first 2 shown]
	s_mul_i32 s14, s29, s14
	s_add_u32 s23, s30, s23
	s_addc_u32 s21, 0, s21
	s_mul_hi_u32 s31, s29, s4
	s_add_u32 s14, s23, s14
	s_mul_i32 s4, s29, s4
	s_addc_u32 s14, s21, s33
	s_addc_u32 s21, s31, 0
	s_add_u32 s4, s14, s4
	s_addc_u32 s14, 0, s21
	s_mul_i32 s31, s24, s4
	s_mul_hi_u32 s21, s24, s4
	s_mul_i32 s30, s24, s14
	v_sub_co_u32 v2, s28, s28, s31
	s_mul_i32 s23, s25, s4
	s_add_i32 s21, s21, s30
	s_delay_alu instid0(SALU_CYCLE_1) | instskip(NEXT) | instid1(VALU_DEP_1)
	s_add_i32 s21, s21, s23
	v_sub_co_u32 v3, s30, v2, s24
	s_sub_i32 s23, s29, s21
	s_cmp_lg_u32 s28, 0
	s_subb_u32 s23, s23, s25
	s_cmp_lg_u32 s30, 0
	v_readfirstlane_b32 s30, v3
	s_subb_u32 s23, s23, 0
	s_delay_alu instid0(SALU_CYCLE_1) | instskip(SKIP_1) | instid1(VALU_DEP_1)
	s_cmp_ge_u32 s23, s25
	s_cselect_b32 s31, -1, 0
	s_cmp_ge_u32 s30, s24
	s_cselect_b32 s30, -1, 0
	s_cmp_eq_u32 s23, s25
	s_cselect_b32 s23, s30, s31
	s_add_u32 s30, s4, 1
	s_addc_u32 s31, s14, 0
	s_add_u32 s33, s4, 2
	s_addc_u32 s34, s14, 0
	s_cmp_lg_u32 s23, 0
	s_cselect_b32 s23, s33, s30
	s_cselect_b32 s30, s34, s31
	s_cmp_lg_u32 s28, 0
	v_readfirstlane_b32 s28, v2
	s_subb_u32 s21, s29, s21
	s_delay_alu instid0(SALU_CYCLE_1) | instskip(SKIP_1) | instid1(VALU_DEP_1)
	s_cmp_ge_u32 s21, s25
	s_cselect_b32 s29, -1, 0
	s_cmp_ge_u32 s28, s24
	s_cselect_b32 s24, -1, 0
	s_cmp_eq_u32 s21, s25
	s_cselect_b32 s21, s24, s29
	s_delay_alu instid0(SALU_CYCLE_1) | instskip(SKIP_3) | instid1(SALU_CYCLE_1)
	s_cmp_lg_u32 s21, 0
	s_cselect_b32 s25, s30, s14
	s_cselect_b32 s24, s23, s4
	s_xor_b64 s[16:17], s[26:27], s[16:17]
	s_xor_b64 s[24:25], s[24:25], s[16:17]
	s_delay_alu instid0(SALU_CYCLE_1)
	s_sub_u32 s16, s24, s16
	s_and_not1_b32 vcc_lo, exec_lo, s22
	s_cbranch_vccnz .LBB9_6
.LBB9_5:
	v_rcp_iflag_f32_e32 v2, v1
	s_sub_i32 s14, 0, s10
	s_waitcnt_depctr 0xfff
	v_mul_f32_e32 v2, 0x4f7ffffe, v2
	s_delay_alu instid0(VALU_DEP_1) | instskip(NEXT) | instid1(VALU_DEP_1)
	v_cvt_u32_f32_e32 v2, v2
	v_readfirstlane_b32 s4, v2
	s_delay_alu instid0(VALU_DEP_1) | instskip(NEXT) | instid1(SALU_CYCLE_1)
	s_mul_i32 s14, s14, s4
	s_mul_hi_u32 s14, s4, s14
	s_delay_alu instid0(SALU_CYCLE_1) | instskip(NEXT) | instid1(SALU_CYCLE_1)
	s_add_i32 s4, s4, s14
	s_mul_hi_u32 s4, s2, s4
	s_delay_alu instid0(SALU_CYCLE_1) | instskip(SKIP_2) | instid1(SALU_CYCLE_1)
	s_mul_i32 s14, s4, s10
	s_add_i32 s16, s4, 1
	s_sub_i32 s14, s2, s14
	s_sub_i32 s17, s14, s10
	s_cmp_ge_u32 s14, s10
	s_cselect_b32 s4, s16, s4
	s_cselect_b32 s14, s17, s14
	s_add_i32 s16, s4, 1
	s_cmp_ge_u32 s14, s10
	s_cselect_b32 s16, s16, s4
.LBB9_6:
	s_add_u32 s2, s2, s12
	s_addc_u32 s3, s3, s13
	s_add_u32 s22, s2, -1
	s_addc_u32 s23, s3, -1
	s_delay_alu instid0(SALU_CYCLE_1) | instskip(SKIP_1) | instid1(SALU_CYCLE_1)
	s_or_b64 s[24:25], s[22:23], s[10:11]
	s_mov_b32 s24, 0
	s_cmp_lg_u64 s[24:25], 0
	s_cbranch_scc0 .LBB9_87
; %bb.7:
	s_add_u32 s2, s10, s11
	s_mov_b32 s26, s11
	s_mov_b32 s27, s11
	s_addc_u32 s3, s11, s11
	s_delay_alu instid0(SALU_CYCLE_1) | instskip(NEXT) | instid1(SALU_CYCLE_1)
	s_xor_b64 s[2:3], s[2:3], s[26:27]
	v_cvt_f32_u32_e32 v2, s2
	v_cvt_f32_u32_e32 v3, s3
	s_sub_u32 s17, 0, s2
	s_subb_u32 s21, 0, s3
	s_delay_alu instid0(VALU_DEP_1) | instskip(NEXT) | instid1(VALU_DEP_1)
	v_fmamk_f32 v2, v3, 0x4f800000, v2
	v_rcp_f32_e32 v2, v2
	s_waitcnt_depctr 0xfff
	v_mul_f32_e32 v2, 0x5f7ffffc, v2
	s_delay_alu instid0(VALU_DEP_1) | instskip(NEXT) | instid1(VALU_DEP_1)
	v_mul_f32_e32 v3, 0x2f800000, v2
	v_trunc_f32_e32 v3, v3
	s_delay_alu instid0(VALU_DEP_1) | instskip(SKIP_1) | instid1(VALU_DEP_2)
	v_fmamk_f32 v2, v3, 0xcf800000, v2
	v_cvt_u32_f32_e32 v3, v3
	v_cvt_u32_f32_e32 v2, v2
	s_delay_alu instid0(VALU_DEP_2) | instskip(NEXT) | instid1(VALU_DEP_2)
	v_readfirstlane_b32 s4, v3
	v_readfirstlane_b32 s14, v2
	s_delay_alu instid0(VALU_DEP_2) | instskip(NEXT) | instid1(VALU_DEP_1)
	s_mul_i32 s25, s17, s4
	s_mul_hi_u32 s29, s17, s14
	s_mul_i32 s28, s21, s14
	s_add_i32 s25, s29, s25
	s_mul_i32 s30, s17, s14
	s_add_i32 s25, s25, s28
	s_mul_hi_u32 s29, s14, s30
	s_mul_hi_u32 s31, s4, s30
	s_mul_i32 s28, s4, s30
	s_mul_hi_u32 s30, s14, s25
	s_mul_i32 s14, s14, s25
	s_mul_hi_u32 s33, s4, s25
	s_add_u32 s14, s29, s14
	s_addc_u32 s29, 0, s30
	s_add_u32 s14, s14, s28
	s_mul_i32 s25, s4, s25
	s_addc_u32 s14, s29, s31
	s_addc_u32 s28, s33, 0
	s_add_u32 s14, s14, s25
	s_addc_u32 s25, 0, s28
	v_add_co_u32 v2, s14, v2, s14
	s_delay_alu instid0(VALU_DEP_1) | instskip(SKIP_1) | instid1(VALU_DEP_1)
	s_cmp_lg_u32 s14, 0
	s_addc_u32 s4, s4, s25
	v_readfirstlane_b32 s14, v2
	s_mul_i32 s25, s17, s4
	s_delay_alu instid0(VALU_DEP_1)
	s_mul_hi_u32 s28, s17, s14
	s_mul_i32 s21, s21, s14
	s_add_i32 s25, s28, s25
	s_mul_i32 s17, s17, s14
	s_add_i32 s25, s25, s21
	s_mul_hi_u32 s28, s4, s17
	s_mul_i32 s29, s4, s17
	s_mul_hi_u32 s17, s14, s17
	s_mul_hi_u32 s30, s14, s25
	s_mul_i32 s14, s14, s25
	s_mul_hi_u32 s21, s4, s25
	s_add_u32 s14, s17, s14
	s_addc_u32 s17, 0, s30
	s_add_u32 s14, s14, s29
	s_mul_i32 s25, s4, s25
	s_addc_u32 s14, s17, s28
	s_addc_u32 s17, s21, 0
	s_add_u32 s14, s14, s25
	s_addc_u32 s17, 0, s17
	v_add_co_u32 v2, s14, v2, s14
	s_delay_alu instid0(VALU_DEP_1) | instskip(SKIP_2) | instid1(VALU_DEP_1)
	s_cmp_lg_u32 s14, 0
	s_addc_u32 s4, s4, s17
	s_ashr_i32 s28, s23, 31
	v_readfirstlane_b32 s14, v2
	s_add_u32 s30, s22, s28
	s_mov_b32 s29, s28
	s_addc_u32 s31, s23, s28
	s_delay_alu instid0(SALU_CYCLE_1) | instskip(NEXT) | instid1(SALU_CYCLE_1)
	s_xor_b64 s[30:31], s[30:31], s[28:29]
	s_mul_i32 s21, s30, s4
	s_mul_hi_u32 s23, s30, s14
	s_mul_hi_u32 s17, s30, s4
	;; [unrolled: 1-line block ×3, first 2 shown]
	s_mul_i32 s14, s31, s14
	s_add_u32 s21, s23, s21
	s_addc_u32 s17, 0, s17
	s_mul_hi_u32 s25, s31, s4
	s_add_u32 s14, s21, s14
	s_mul_i32 s4, s31, s4
	s_addc_u32 s14, s17, s33
	s_addc_u32 s17, s25, 0
	s_add_u32 s4, s14, s4
	s_addc_u32 s14, 0, s17
	s_mul_hi_u32 s17, s2, s4
	s_mul_i32 s14, s2, s14
	s_mul_i32 s23, s2, s4
	;; [unrolled: 1-line block ×3, first 2 shown]
	s_add_i32 s14, s17, s14
	v_sub_co_u32 v2, s17, s30, s23
	s_add_i32 s14, s14, s21
	s_delay_alu instid0(SALU_CYCLE_1) | instskip(SKIP_1) | instid1(VALU_DEP_1)
	s_sub_i32 s21, s31, s14
	s_cmp_lg_u32 s17, 0
	v_sub_co_u32 v3, s23, v2, s2
	s_subb_u32 s21, s21, s3
	s_cmp_lg_u32 s23, 0
	s_subb_u32 s21, s21, 0
	s_delay_alu instid0(VALU_DEP_1)
	v_cmp_le_u32_e32 vcc_lo, s2, v3
	s_cmp_ge_u32 s21, s3
	v_cmp_le_u32_e64 s2, s2, v2
	s_cselect_b32 s23, -1, 0
	s_cmp_eq_u32 s21, s3
	v_cndmask_b32_e64 v3, 0, -1, vcc_lo
	s_cselect_b32 vcc_lo, -1, 0
	s_add_u32 s21, s4, 1
	s_add_u32 s25, s4, 2
	s_cmp_lg_u32 s17, 0
	v_mov_b32_e32 v4, s25
	v_cndmask_b32_e64 v2, 0, -1, s2
	s_subb_u32 s2, s31, s14
	v_cndmask_b32_e32 v3, s23, v3, vcc_lo
	s_cmp_ge_u32 s2, s3
	s_cselect_b32 s14, -1, 0
	s_cmp_eq_u32 s2, s3
	s_cselect_b32 vcc_lo, -1, 0
	s_xor_b64 s[2:3], s[28:29], s[26:27]
	v_cndmask_b32_e32 v2, s14, v2, vcc_lo
	v_cmp_ne_u32_e32 vcc_lo, 0, v3
	v_cndmask_b32_e32 v3, s21, v4, vcc_lo
	s_delay_alu instid0(VALU_DEP_3) | instskip(NEXT) | instid1(VALU_DEP_2)
	v_cmp_ne_u32_e32 vcc_lo, 0, v2
	v_cndmask_b32_e32 v2, s4, v3, vcc_lo
	s_delay_alu instid0(VALU_DEP_1) | instskip(NEXT) | instid1(VALU_DEP_1)
	v_xor_b32_e32 v2, s2, v2
	v_sub_co_u32 v3, vcc_lo, v2, s2
	s_load_b32 s2, s[0:1], 0x3c
	s_and_not1_b32 vcc_lo, exec_lo, s24
	s_cbranch_vccnz .LBB9_9
.LBB9_8:
	v_rcp_iflag_f32_e32 v1, v1
	s_sub_i32 s3, 0, s10
	s_waitcnt_depctr 0xfff
	v_mul_f32_e32 v1, 0x4f7ffffe, v1
	s_delay_alu instid0(VALU_DEP_1) | instskip(NEXT) | instid1(VALU_DEP_1)
	v_cvt_u32_f32_e32 v1, v1
	v_mul_lo_u32 v2, s3, v1
	s_delay_alu instid0(VALU_DEP_1) | instskip(NEXT) | instid1(VALU_DEP_1)
	v_mul_hi_u32 v2, v1, v2
	v_add_nc_u32_e32 v1, v1, v2
	s_delay_alu instid0(VALU_DEP_1) | instskip(NEXT) | instid1(VALU_DEP_1)
	v_mul_hi_u32 v1, s22, v1
	v_mul_lo_u32 v2, v1, s10
	v_add_nc_u32_e32 v3, 1, v1
	s_delay_alu instid0(VALU_DEP_2) | instskip(NEXT) | instid1(VALU_DEP_1)
	v_sub_nc_u32_e32 v2, s22, v2
	v_subrev_nc_u32_e32 v4, s10, v2
	v_cmp_le_u32_e32 vcc_lo, s10, v2
	s_delay_alu instid0(VALU_DEP_2) | instskip(NEXT) | instid1(VALU_DEP_1)
	v_dual_cndmask_b32 v2, v2, v4 :: v_dual_cndmask_b32 v1, v1, v3
	v_cmp_le_u32_e32 vcc_lo, s10, v2
	s_delay_alu instid0(VALU_DEP_2) | instskip(NEXT) | instid1(VALU_DEP_1)
	v_add_nc_u32_e32 v3, 1, v1
	v_cndmask_b32_e32 v3, v1, v3, vcc_lo
.LBB9_9:
	v_bfe_u32 v4, v0, 10, 10
	s_waitcnt lgkmcnt(0)
	s_lshr_b32 s3, s2, 16
	s_mov_b32 s4, exec_lo
	s_delay_alu instid0(VALU_DEP_1) | instskip(NEXT) | instid1(VALU_DEP_1)
	v_mad_u64_u32 v[1:2], null, s15, s3, v[4:5]
	v_cmpx_gt_i32_e64 s5, v1
	s_cbranch_execz .LBB9_84
; %bb.10:
	s_clause 0x1
	s_load_b128 s[24:27], s[0:1], 0x0
	s_load_b32 s43, s[0:1], 0x34
	s_mul_i32 s4, s6, s5
	s_mul_hi_i32 s14, s6, s5
	s_mul_i32 s15, s4, s19
	s_mul_hi_u32 s19, s4, s18
	s_mul_i32 s21, s14, s18
	s_add_i32 s15, s19, s15
	s_mul_i32 s14, s4, s18
	s_add_i32 s15, s15, s21
	s_ashr_i32 s17, s5, 31
	s_lshl_b64 s[14:15], s[14:15], 2
	s_ashr_i32 s33, s6, 31
	s_mul_i32 s4, s20, s7
	s_mul_i32 s18, s9, s8
	s_mov_b32 s37, s5
	v_and_b32_e32 v30, 0x3ff, v0
	v_cvt_f32_u32_e32 v4, s37
	s_mov_b32 s40, s6
	s_mov_b32 s41, s8
	s_waitcnt lgkmcnt(0)
	s_add_u32 s7, s24, s14
	s_addc_u32 s36, s25, s15
	s_add_i32 s4, s4, s16
	v_rcp_iflag_f32_e32 v4, v4
	s_mul_i32 s14, s18, s4
	s_mov_b32 s42, s9
	s_ashr_i32 s15, s14, 31
	s_mul_i32 s43, s43, s3
	s_lshl_b64 s[14:15], s[14:15], 2
	s_mov_b32 s20, 0
	s_add_u32 s14, s26, s14
	s_addc_u32 s15, s27, s15
	s_ashr_i32 s38, s5, 31
	s_waitcnt_depctr 0xfff
	v_mul_f32_e32 v4, 0x4f7ffffe, v4
	s_add_i32 s4, s5, s38
	s_sub_i32 s1, 0, s5
	s_xor_b32 s39, s4, s38
	s_ashr_i32 s19, s18, 31
	v_cvt_f32_u32_e32 v2, s39
	v_cvt_u32_f32_e32 v4, v4
	s_sub_i32 s0, 0, s39
	s_and_b32 s44, s2, 0xffff
	s_ashr_i32 s45, s8, 31
	v_rcp_iflag_f32_e32 v2, v2
	v_mul_lo_u32 v6, s1, v4
	s_ashr_i32 s46, s9, 31
	s_lshl_b64 s[18:19], s[18:19], 2
	s_mov_b32 s47, 0
	s_waitcnt_depctr 0xfff
	v_dual_mul_f32 v2, 0x4f7ffffe, v2 :: v_dual_add_nc_u32 v29, 1, v3
	s_delay_alu instid0(VALU_DEP_1) | instskip(NEXT) | instid1(VALU_DEP_2)
	v_cmp_lt_i32_e64 s1, s16, v29
	v_cvt_u32_f32_e32 v5, v2
	s_delay_alu instid0(VALU_DEP_1) | instskip(SKIP_1) | instid1(VALU_DEP_2)
	v_mul_lo_u32 v3, s0, v5
	v_cmp_gt_i32_e64 s0, s6, v30
	v_mul_hi_u32 v0, v5, v3
	v_mul_hi_u32 v3, v4, v6
	s_delay_alu instid0(VALU_DEP_2) | instskip(NEXT) | instid1(VALU_DEP_2)
	v_dual_mov_b32 v2, 0 :: v_dual_add_nc_u32 v31, v5, v0
	v_add_nc_u32_e32 v32, v4, v3
	s_branch .LBB9_12
.LBB9_11:                               ;   in Loop: Header=BB9_12 Depth=1
	s_or_b32 exec_lo, exec_lo, s48
	v_add_nc_u32_e32 v1, s43, v1
	s_delay_alu instid0(VALU_DEP_1) | instskip(SKIP_1) | instid1(SALU_CYCLE_1)
	v_cmp_le_i32_e32 vcc_lo, s5, v1
	s_or_b32 s47, vcc_lo, s47
	s_and_not1_b32 exec_lo, exec_lo, s47
	s_cbranch_execz .LBB9_84
.LBB9_12:                               ; =>This Loop Header: Depth=1
                                        ;     Child Loop BB9_27 Depth 2
                                        ;       Child Loop BB9_42 Depth 3
                                        ;         Child Loop BB9_54 Depth 4
                                        ;           Child Loop BB9_69 Depth 5
	v_ashrrev_i32_e32 v0, 31, v1
	s_mov_b32 s2, exec_lo
                                        ; implicit-def: $vgpr7_vgpr8
	s_delay_alu instid0(VALU_DEP_1) | instskip(NEXT) | instid1(VALU_DEP_1)
	v_or_b32_e32 v3, s17, v0
	v_cmpx_ne_u64_e32 0, v[2:3]
	s_xor_b32 s2, exec_lo, s2
	s_cbranch_execz .LBB9_14
; %bb.13:                               ;   in Loop: Header=BB9_12 Depth=1
	v_ashrrev_i32_e32 v3, 31, v1
	s_delay_alu instid0(VALU_DEP_1) | instskip(NEXT) | instid1(VALU_DEP_1)
	v_add_nc_u32_e32 v4, v1, v3
	v_xor_b32_e32 v4, v4, v3
	v_xor_b32_e32 v3, s38, v3
	s_delay_alu instid0(VALU_DEP_2) | instskip(NEXT) | instid1(VALU_DEP_1)
	v_mul_hi_u32 v5, v4, v31
	v_mul_lo_u32 v6, v5, s39
	s_delay_alu instid0(VALU_DEP_1) | instskip(SKIP_1) | instid1(VALU_DEP_2)
	v_sub_nc_u32_e32 v4, v4, v6
	v_add_nc_u32_e32 v6, 1, v5
	v_subrev_nc_u32_e32 v7, s39, v4
	v_cmp_le_u32_e32 vcc_lo, s39, v4
	s_delay_alu instid0(VALU_DEP_2) | instskip(NEXT) | instid1(VALU_DEP_1)
	v_dual_cndmask_b32 v4, v4, v7 :: v_dual_cndmask_b32 v5, v5, v6
	v_cmp_le_u32_e32 vcc_lo, s39, v4
	s_delay_alu instid0(VALU_DEP_2) | instskip(NEXT) | instid1(VALU_DEP_1)
	v_add_nc_u32_e32 v6, 1, v5
	v_cndmask_b32_e32 v4, v5, v6, vcc_lo
	s_delay_alu instid0(VALU_DEP_1) | instskip(NEXT) | instid1(VALU_DEP_1)
	v_xor_b32_e32 v4, v4, v3
	v_sub_nc_u32_e32 v7, v4, v3
	s_delay_alu instid0(VALU_DEP_1)
	v_ashrrev_i32_e32 v8, 31, v7
.LBB9_14:                               ;   in Loop: Header=BB9_12 Depth=1
	s_and_not1_saveexec_b32 s2, s2
; %bb.15:                               ;   in Loop: Header=BB9_12 Depth=1
	v_mul_hi_u32 v3, v1, v32
	v_mov_b32_e32 v8, v2
	s_delay_alu instid0(VALU_DEP_2) | instskip(NEXT) | instid1(VALU_DEP_1)
	v_mul_lo_u32 v4, v3, s37
	v_sub_nc_u32_e32 v4, v1, v4
	s_delay_alu instid0(VALU_DEP_1) | instskip(SKIP_1) | instid1(VALU_DEP_2)
	v_subrev_nc_u32_e32 v6, s37, v4
	v_cmp_le_u32_e32 vcc_lo, s37, v4
	v_dual_cndmask_b32 v4, v4, v6 :: v_dual_add_nc_u32 v5, 1, v3
	s_delay_alu instid0(VALU_DEP_1) | instskip(NEXT) | instid1(VALU_DEP_2)
	v_cndmask_b32_e32 v3, v3, v5, vcc_lo
	v_cmp_le_u32_e32 vcc_lo, s37, v4
	s_delay_alu instid0(VALU_DEP_2) | instskip(NEXT) | instid1(VALU_DEP_1)
	v_add_nc_u32_e32 v5, 1, v3
	v_cndmask_b32_e32 v7, v3, v5, vcc_lo
; %bb.16:                               ;   in Loop: Header=BB9_12 Depth=1
	s_or_b32 exec_lo, exec_lo, s2
	v_mul_lo_u32 v5, v8, s37
	s_delay_alu instid0(VALU_DEP_2) | instskip(SKIP_2) | instid1(VALU_DEP_1)
	v_mul_lo_u32 v6, v7, s17
	v_mad_u64_u32 v[3:4], null, v7, s37, 0
	s_mov_b32 s2, exec_lo
	v_add3_u32 v4, v4, v6, v5
	s_delay_alu instid0(VALU_DEP_2) | instskip(NEXT) | instid1(VALU_DEP_2)
	v_sub_co_u32 v3, vcc_lo, v1, v3
	v_sub_co_ci_u32_e32 v4, vcc_lo, v0, v4, vcc_lo
	s_delay_alu instid0(VALU_DEP_2) | instskip(NEXT) | instid1(VALU_DEP_2)
	v_mul_lo_u32 v6, v3, s45
	v_mul_lo_u32 v8, v4, s41
	v_mad_u64_u32 v[4:5], null, v3, s41, 0
	s_delay_alu instid0(VALU_DEP_1) | instskip(NEXT) | instid1(VALU_DEP_1)
	v_add3_u32 v5, v5, v6, v8
                                        ; implicit-def: $vgpr8_vgpr9
	v_or_b32_e32 v3, s17, v5
	s_delay_alu instid0(VALU_DEP_1)
	v_cmpx_ne_u64_e32 0, v[2:3]
	s_xor_b32 s3, exec_lo, s2
	s_cbranch_execz .LBB9_18
; %bb.17:                               ;   in Loop: Header=BB9_12 Depth=1
	s_add_u32 s24, s37, s17
	s_mov_b32 s22, s17
	s_mov_b32 s23, s17
	s_addc_u32 s25, s17, s17
	s_delay_alu instid0(SALU_CYCLE_1) | instskip(NEXT) | instid1(SALU_CYCLE_1)
	s_xor_b64 s[24:25], s[24:25], s[22:23]
	v_cvt_f32_u32_e32 v3, s24
	v_cvt_f32_u32_e32 v6, s25
	s_sub_u32 s2, 0, s24
	s_subb_u32 s4, 0, s25
	s_delay_alu instid0(VALU_DEP_1) | instskip(NEXT) | instid1(VALU_DEP_1)
	v_fmac_f32_e32 v3, 0x4f800000, v6
	v_rcp_f32_e32 v3, v3
	s_waitcnt_depctr 0xfff
	v_mul_f32_e32 v3, 0x5f7ffffc, v3
	s_delay_alu instid0(VALU_DEP_1) | instskip(NEXT) | instid1(VALU_DEP_1)
	v_mul_f32_e32 v6, 0x2f800000, v3
	v_trunc_f32_e32 v6, v6
	s_delay_alu instid0(VALU_DEP_1) | instskip(SKIP_1) | instid1(VALU_DEP_2)
	v_fmac_f32_e32 v3, 0xcf800000, v6
	v_cvt_u32_f32_e32 v6, v6
	v_cvt_u32_f32_e32 v3, v3
	s_delay_alu instid0(VALU_DEP_2) | instskip(NEXT) | instid1(VALU_DEP_2)
	v_mul_lo_u32 v8, s2, v6
	v_mul_hi_u32 v9, s2, v3
	v_mul_lo_u32 v10, s4, v3
	s_delay_alu instid0(VALU_DEP_2) | instskip(SKIP_1) | instid1(VALU_DEP_2)
	v_add_nc_u32_e32 v8, v9, v8
	v_mul_lo_u32 v9, s2, v3
	v_add_nc_u32_e32 v8, v8, v10
	s_delay_alu instid0(VALU_DEP_2) | instskip(NEXT) | instid1(VALU_DEP_2)
	v_mul_hi_u32 v10, v3, v9
	v_mul_lo_u32 v11, v3, v8
	v_mul_hi_u32 v12, v3, v8
	v_mul_hi_u32 v13, v6, v9
	v_mul_lo_u32 v9, v6, v9
	v_mul_hi_u32 v14, v6, v8
	v_mul_lo_u32 v8, v6, v8
	v_add_co_u32 v10, vcc_lo, v10, v11
	v_add_co_ci_u32_e32 v11, vcc_lo, 0, v12, vcc_lo
	s_delay_alu instid0(VALU_DEP_2) | instskip(NEXT) | instid1(VALU_DEP_2)
	v_add_co_u32 v9, vcc_lo, v10, v9
	v_add_co_ci_u32_e32 v9, vcc_lo, v11, v13, vcc_lo
	v_add_co_ci_u32_e32 v10, vcc_lo, 0, v14, vcc_lo
	v_ashrrev_i32_e32 v13, 31, v5
	s_delay_alu instid0(VALU_DEP_3) | instskip(NEXT) | instid1(VALU_DEP_3)
	v_add_co_u32 v8, vcc_lo, v9, v8
	v_add_co_ci_u32_e32 v9, vcc_lo, 0, v10, vcc_lo
	s_delay_alu instid0(VALU_DEP_2) | instskip(NEXT) | instid1(VALU_DEP_2)
	v_add_co_u32 v3, vcc_lo, v3, v8
	v_add_co_ci_u32_e32 v6, vcc_lo, v6, v9, vcc_lo
	s_delay_alu instid0(VALU_DEP_2) | instskip(SKIP_1) | instid1(VALU_DEP_3)
	v_mul_hi_u32 v8, s2, v3
	v_mul_lo_u32 v10, s4, v3
	v_mul_lo_u32 v9, s2, v6
	s_delay_alu instid0(VALU_DEP_1) | instskip(SKIP_1) | instid1(VALU_DEP_2)
	v_add_nc_u32_e32 v8, v8, v9
	v_mul_lo_u32 v9, s2, v3
	v_add_nc_u32_e32 v8, v8, v10
	s_delay_alu instid0(VALU_DEP_2) | instskip(NEXT) | instid1(VALU_DEP_2)
	v_mul_hi_u32 v10, v3, v9
	v_mul_lo_u32 v11, v3, v8
	v_mul_hi_u32 v12, v3, v8
	v_mul_hi_u32 v14, v6, v9
	v_mul_lo_u32 v9, v6, v9
	v_mul_hi_u32 v15, v6, v8
	v_mul_lo_u32 v8, v6, v8
	v_add_co_u32 v10, vcc_lo, v10, v11
	v_add_co_ci_u32_e32 v11, vcc_lo, 0, v12, vcc_lo
	s_delay_alu instid0(VALU_DEP_2) | instskip(NEXT) | instid1(VALU_DEP_2)
	v_add_co_u32 v9, vcc_lo, v10, v9
	v_add_co_ci_u32_e32 v9, vcc_lo, v11, v14, vcc_lo
	v_add_co_ci_u32_e32 v10, vcc_lo, 0, v15, vcc_lo
	v_add_co_u32 v4, vcc_lo, v4, v13
	v_add_co_ci_u32_e32 v5, vcc_lo, v5, v13, vcc_lo
	s_delay_alu instid0(VALU_DEP_4) | instskip(NEXT) | instid1(VALU_DEP_4)
	v_add_co_u32 v8, vcc_lo, v9, v8
	v_add_co_ci_u32_e32 v9, vcc_lo, 0, v10, vcc_lo
	s_delay_alu instid0(VALU_DEP_4) | instskip(NEXT) | instid1(VALU_DEP_3)
	v_xor_b32_e32 v10, v4, v13
	v_add_co_u32 v8, vcc_lo, v3, v8
	s_delay_alu instid0(VALU_DEP_3) | instskip(SKIP_1) | instid1(VALU_DEP_3)
	v_add_co_ci_u32_e32 v11, vcc_lo, v6, v9, vcc_lo
	v_xor_b32_e32 v12, v5, v13
	v_mul_hi_u32 v14, v10, v8
	s_delay_alu instid0(VALU_DEP_3) | instskip(NEXT) | instid1(VALU_DEP_3)
	v_mad_u64_u32 v[3:4], null, v10, v11, 0
	v_mad_u64_u32 v[5:6], null, v12, v8, 0
	;; [unrolled: 1-line block ×3, first 2 shown]
	s_delay_alu instid0(VALU_DEP_3) | instskip(NEXT) | instid1(VALU_DEP_4)
	v_add_co_u32 v3, vcc_lo, v14, v3
	v_add_co_ci_u32_e32 v4, vcc_lo, 0, v4, vcc_lo
	s_delay_alu instid0(VALU_DEP_2) | instskip(NEXT) | instid1(VALU_DEP_2)
	v_add_co_u32 v3, vcc_lo, v3, v5
	v_add_co_ci_u32_e32 v3, vcc_lo, v4, v6, vcc_lo
	v_add_co_ci_u32_e32 v4, vcc_lo, 0, v9, vcc_lo
	s_delay_alu instid0(VALU_DEP_2) | instskip(NEXT) | instid1(VALU_DEP_2)
	v_add_co_u32 v5, vcc_lo, v3, v8
	v_add_co_ci_u32_e32 v6, vcc_lo, 0, v4, vcc_lo
	s_delay_alu instid0(VALU_DEP_2) | instskip(SKIP_1) | instid1(VALU_DEP_3)
	v_mul_lo_u32 v8, s25, v5
	v_mad_u64_u32 v[3:4], null, s24, v5, 0
	v_mul_lo_u32 v6, s24, v6
	s_delay_alu instid0(VALU_DEP_2) | instskip(NEXT) | instid1(VALU_DEP_2)
	v_sub_co_u32 v3, vcc_lo, v10, v3
	v_add3_u32 v4, v4, v6, v8
	v_add_co_u32 v8, s2, v5, 2
	s_delay_alu instid0(VALU_DEP_2) | instskip(NEXT) | instid1(VALU_DEP_1)
	v_sub_nc_u32_e32 v6, v12, v4
	v_subrev_co_ci_u32_e64 v6, s2, s25, v6, vcc_lo
	v_sub_co_u32 v9, s2, v3, s24
	v_sub_co_ci_u32_e32 v4, vcc_lo, v12, v4, vcc_lo
	s_delay_alu instid0(VALU_DEP_3) | instskip(NEXT) | instid1(VALU_DEP_3)
	v_subrev_co_ci_u32_e64 v6, s2, 0, v6, s2
	v_cmp_le_u32_e32 vcc_lo, s24, v9
	v_cndmask_b32_e64 v9, 0, -1, vcc_lo
	s_delay_alu instid0(VALU_DEP_3)
	v_cmp_le_u32_e32 vcc_lo, s25, v6
	v_cndmask_b32_e64 v10, 0, -1, vcc_lo
	v_cmp_le_u32_e32 vcc_lo, s24, v3
	v_cndmask_b32_e64 v3, 0, -1, vcc_lo
	v_cmp_le_u32_e32 vcc_lo, s25, v4
	v_cndmask_b32_e64 v11, 0, -1, vcc_lo
	v_cmp_eq_u32_e32 vcc_lo, s25, v6
	v_cndmask_b32_e32 v6, v10, v9, vcc_lo
	v_add_co_u32 v9, vcc_lo, v5, 1
	v_cmp_eq_u32_e32 vcc_lo, s25, v4
	v_cndmask_b32_e32 v3, v11, v3, vcc_lo
	s_delay_alu instid0(VALU_DEP_4) | instskip(NEXT) | instid1(VALU_DEP_4)
	v_cmp_ne_u32_e32 vcc_lo, 0, v6
	v_cndmask_b32_e32 v4, v9, v8, vcc_lo
	s_delay_alu instid0(VALU_DEP_3) | instskip(NEXT) | instid1(VALU_DEP_2)
	v_cmp_ne_u32_e32 vcc_lo, 0, v3
	v_cndmask_b32_e32 v3, v5, v4, vcc_lo
	v_xor_b32_e32 v4, s22, v13
	s_delay_alu instid0(VALU_DEP_1) | instskip(NEXT) | instid1(VALU_DEP_1)
	v_xor_b32_e32 v3, v3, v4
	v_sub_co_u32 v8, vcc_lo, v3, v4
                                        ; implicit-def: $vgpr4_vgpr5
.LBB9_18:                               ;   in Loop: Header=BB9_12 Depth=1
	s_and_not1_saveexec_b32 s2, s3
; %bb.19:                               ;   in Loop: Header=BB9_12 Depth=1
	s_delay_alu instid0(VALU_DEP_4) | instskip(NEXT) | instid1(VALU_DEP_1)
	v_mul_hi_u32 v3, v4, v32
	v_mul_lo_u32 v5, v3, s37
	s_delay_alu instid0(VALU_DEP_1) | instskip(NEXT) | instid1(VALU_DEP_1)
	v_sub_nc_u32_e32 v4, v4, v5
	v_subrev_nc_u32_e32 v6, s37, v4
	v_cmp_le_u32_e32 vcc_lo, s37, v4
	s_delay_alu instid0(VALU_DEP_2) | instskip(NEXT) | instid1(VALU_DEP_1)
	v_dual_cndmask_b32 v4, v4, v6 :: v_dual_add_nc_u32 v5, 1, v3
	v_cndmask_b32_e32 v3, v3, v5, vcc_lo
	s_delay_alu instid0(VALU_DEP_2) | instskip(NEXT) | instid1(VALU_DEP_2)
	v_cmp_le_u32_e32 vcc_lo, s37, v4
	v_add_nc_u32_e32 v5, 1, v3
	s_delay_alu instid0(VALU_DEP_1)
	v_cndmask_b32_e32 v8, v3, v5, vcc_lo
; %bb.20:                               ;   in Loop: Header=BB9_12 Depth=1
	s_or_b32 exec_lo, exec_lo, s2
	v_add_co_u32 v3, vcc_lo, v1, 1
	v_add_co_ci_u32_e32 v0, vcc_lo, 0, v0, vcc_lo
                                        ; implicit-def: $vgpr9_vgpr10
	s_mov_b32 s2, exec_lo
	s_delay_alu instid0(VALU_DEP_2) | instskip(SKIP_1) | instid1(VALU_DEP_3)
	v_mul_lo_u32 v6, v3, s45
	v_mad_u64_u32 v[4:5], null, v3, s41, -1
	v_mul_lo_u32 v0, v0, s41
	s_delay_alu instid0(VALU_DEP_1) | instskip(NEXT) | instid1(VALU_DEP_1)
	v_add3_u32 v5, v0, v5, v6
	v_or_b32_e32 v3, s17, v5
	s_delay_alu instid0(VALU_DEP_1)
	v_cmpx_ne_u64_e32 0, v[2:3]
	s_xor_b32 s3, exec_lo, s2
	s_cbranch_execnz .LBB9_23
; %bb.21:                               ;   in Loop: Header=BB9_12 Depth=1
	s_and_not1_saveexec_b32 s2, s3
	s_cbranch_execnz .LBB9_24
.LBB9_22:                               ;   in Loop: Header=BB9_12 Depth=1
	s_or_b32 exec_lo, exec_lo, s2
	s_and_saveexec_b32 s48, s0
	s_cbranch_execz .LBB9_11
	s_branch .LBB9_25
.LBB9_23:                               ;   in Loop: Header=BB9_12 Depth=1
	s_add_u32 s24, s37, s17
	s_mov_b32 s22, s17
	s_mov_b32 s23, s17
	s_addc_u32 s25, s17, s17
	s_delay_alu instid0(SALU_CYCLE_1) | instskip(NEXT) | instid1(SALU_CYCLE_1)
	s_xor_b64 s[24:25], s[24:25], s[22:23]
	v_cvt_f32_u32_e32 v0, s24
	v_cvt_f32_u32_e32 v3, s25
	s_sub_u32 s2, 0, s24
	s_subb_u32 s4, 0, s25
	s_delay_alu instid0(VALU_DEP_1) | instskip(NEXT) | instid1(VALU_DEP_1)
	v_fmac_f32_e32 v0, 0x4f800000, v3
	v_rcp_f32_e32 v0, v0
	s_waitcnt_depctr 0xfff
	v_mul_f32_e32 v0, 0x5f7ffffc, v0
	s_delay_alu instid0(VALU_DEP_1) | instskip(NEXT) | instid1(VALU_DEP_1)
	v_mul_f32_e32 v3, 0x2f800000, v0
	v_trunc_f32_e32 v3, v3
	s_delay_alu instid0(VALU_DEP_1) | instskip(SKIP_1) | instid1(VALU_DEP_2)
	v_fmac_f32_e32 v0, 0xcf800000, v3
	v_cvt_u32_f32_e32 v3, v3
	v_cvt_u32_f32_e32 v0, v0
	s_delay_alu instid0(VALU_DEP_2) | instskip(NEXT) | instid1(VALU_DEP_2)
	v_mul_lo_u32 v6, s2, v3
	v_mul_hi_u32 v9, s2, v0
	v_mul_lo_u32 v10, s4, v0
	s_delay_alu instid0(VALU_DEP_2) | instskip(SKIP_1) | instid1(VALU_DEP_2)
	v_add_nc_u32_e32 v6, v9, v6
	v_mul_lo_u32 v9, s2, v0
	v_add_nc_u32_e32 v6, v6, v10
	s_delay_alu instid0(VALU_DEP_2) | instskip(NEXT) | instid1(VALU_DEP_2)
	v_mul_hi_u32 v10, v0, v9
	v_mul_lo_u32 v11, v0, v6
	v_mul_hi_u32 v12, v0, v6
	v_mul_hi_u32 v13, v3, v9
	v_mul_lo_u32 v9, v3, v9
	v_mul_hi_u32 v14, v3, v6
	v_mul_lo_u32 v6, v3, v6
	v_add_co_u32 v10, vcc_lo, v10, v11
	v_add_co_ci_u32_e32 v11, vcc_lo, 0, v12, vcc_lo
	s_delay_alu instid0(VALU_DEP_2) | instskip(NEXT) | instid1(VALU_DEP_2)
	v_add_co_u32 v9, vcc_lo, v10, v9
	v_add_co_ci_u32_e32 v9, vcc_lo, v11, v13, vcc_lo
	v_add_co_ci_u32_e32 v10, vcc_lo, 0, v14, vcc_lo
	v_ashrrev_i32_e32 v13, 31, v5
	s_delay_alu instid0(VALU_DEP_3) | instskip(NEXT) | instid1(VALU_DEP_3)
	v_add_co_u32 v6, vcc_lo, v9, v6
	v_add_co_ci_u32_e32 v9, vcc_lo, 0, v10, vcc_lo
	s_delay_alu instid0(VALU_DEP_2) | instskip(NEXT) | instid1(VALU_DEP_2)
	v_add_co_u32 v0, vcc_lo, v0, v6
	v_add_co_ci_u32_e32 v3, vcc_lo, v3, v9, vcc_lo
	s_delay_alu instid0(VALU_DEP_2) | instskip(SKIP_1) | instid1(VALU_DEP_3)
	v_mul_hi_u32 v6, s2, v0
	v_mul_lo_u32 v10, s4, v0
	v_mul_lo_u32 v9, s2, v3
	s_delay_alu instid0(VALU_DEP_1) | instskip(SKIP_1) | instid1(VALU_DEP_2)
	v_add_nc_u32_e32 v6, v6, v9
	v_mul_lo_u32 v9, s2, v0
	v_add_nc_u32_e32 v6, v6, v10
	s_delay_alu instid0(VALU_DEP_2) | instskip(NEXT) | instid1(VALU_DEP_2)
	v_mul_hi_u32 v10, v0, v9
	v_mul_lo_u32 v11, v0, v6
	v_mul_hi_u32 v12, v0, v6
	v_mul_hi_u32 v14, v3, v9
	v_mul_lo_u32 v9, v3, v9
	v_mul_hi_u32 v15, v3, v6
	v_mul_lo_u32 v6, v3, v6
	v_add_co_u32 v10, vcc_lo, v10, v11
	v_add_co_ci_u32_e32 v11, vcc_lo, 0, v12, vcc_lo
	s_delay_alu instid0(VALU_DEP_2) | instskip(NEXT) | instid1(VALU_DEP_2)
	v_add_co_u32 v9, vcc_lo, v10, v9
	v_add_co_ci_u32_e32 v9, vcc_lo, v11, v14, vcc_lo
	v_add_co_ci_u32_e32 v10, vcc_lo, 0, v15, vcc_lo
	v_add_co_u32 v4, vcc_lo, v4, v13
	v_add_co_ci_u32_e32 v5, vcc_lo, v5, v13, vcc_lo
	s_delay_alu instid0(VALU_DEP_4) | instskip(NEXT) | instid1(VALU_DEP_4)
	v_add_co_u32 v6, vcc_lo, v9, v6
	v_add_co_ci_u32_e32 v9, vcc_lo, 0, v10, vcc_lo
	s_delay_alu instid0(VALU_DEP_4) | instskip(NEXT) | instid1(VALU_DEP_3)
	v_xor_b32_e32 v11, v4, v13
	v_add_co_u32 v0, vcc_lo, v0, v6
	s_delay_alu instid0(VALU_DEP_3) | instskip(SKIP_1) | instid1(VALU_DEP_3)
	v_add_co_ci_u32_e32 v12, vcc_lo, v3, v9, vcc_lo
	v_xor_b32_e32 v14, v5, v13
	v_mul_hi_u32 v15, v11, v0
	s_delay_alu instid0(VALU_DEP_3) | instskip(NEXT) | instid1(VALU_DEP_3)
	v_mad_u64_u32 v[3:4], null, v11, v12, 0
	v_mad_u64_u32 v[5:6], null, v14, v0, 0
	;; [unrolled: 1-line block ×3, first 2 shown]
	s_delay_alu instid0(VALU_DEP_3) | instskip(NEXT) | instid1(VALU_DEP_4)
	v_add_co_u32 v0, vcc_lo, v15, v3
	v_add_co_ci_u32_e32 v3, vcc_lo, 0, v4, vcc_lo
	s_delay_alu instid0(VALU_DEP_2) | instskip(NEXT) | instid1(VALU_DEP_2)
	v_add_co_u32 v0, vcc_lo, v0, v5
	v_add_co_ci_u32_e32 v0, vcc_lo, v3, v6, vcc_lo
	v_add_co_ci_u32_e32 v3, vcc_lo, 0, v10, vcc_lo
	s_delay_alu instid0(VALU_DEP_2) | instskip(NEXT) | instid1(VALU_DEP_2)
	v_add_co_u32 v0, vcc_lo, v0, v9
	v_add_co_ci_u32_e32 v5, vcc_lo, 0, v3, vcc_lo
	s_delay_alu instid0(VALU_DEP_2) | instskip(SKIP_1) | instid1(VALU_DEP_3)
	v_mul_lo_u32 v6, s25, v0
	v_mad_u64_u32 v[3:4], null, s24, v0, 0
	v_mul_lo_u32 v5, s24, v5
	s_delay_alu instid0(VALU_DEP_2) | instskip(NEXT) | instid1(VALU_DEP_2)
	v_sub_co_u32 v3, vcc_lo, v11, v3
	v_add3_u32 v4, v4, v5, v6
	v_add_co_u32 v6, s2, v0, 2
	s_delay_alu instid0(VALU_DEP_2) | instskip(NEXT) | instid1(VALU_DEP_1)
	v_sub_nc_u32_e32 v5, v14, v4
	v_subrev_co_ci_u32_e64 v5, s2, s25, v5, vcc_lo
	v_sub_co_u32 v9, s2, v3, s24
	v_sub_co_ci_u32_e32 v4, vcc_lo, v14, v4, vcc_lo
	s_delay_alu instid0(VALU_DEP_3) | instskip(NEXT) | instid1(VALU_DEP_3)
	v_subrev_co_ci_u32_e64 v5, s2, 0, v5, s2
	v_cmp_le_u32_e32 vcc_lo, s24, v9
	v_cndmask_b32_e64 v9, 0, -1, vcc_lo
	s_delay_alu instid0(VALU_DEP_3)
	v_cmp_le_u32_e32 vcc_lo, s25, v5
	v_cndmask_b32_e64 v10, 0, -1, vcc_lo
	v_cmp_le_u32_e32 vcc_lo, s24, v3
	v_cndmask_b32_e64 v3, 0, -1, vcc_lo
	;; [unrolled: 2-line block ×3, first 2 shown]
	v_cmp_eq_u32_e32 vcc_lo, s25, v5
	v_cndmask_b32_e32 v5, v10, v9, vcc_lo
	v_add_co_u32 v9, vcc_lo, v0, 1
	v_cmp_eq_u32_e32 vcc_lo, s25, v4
	v_cndmask_b32_e32 v3, v11, v3, vcc_lo
	s_delay_alu instid0(VALU_DEP_4) | instskip(NEXT) | instid1(VALU_DEP_4)
	v_cmp_ne_u32_e32 vcc_lo, 0, v5
	v_cndmask_b32_e32 v4, v9, v6, vcc_lo
	s_delay_alu instid0(VALU_DEP_3) | instskip(SKIP_1) | instid1(VALU_DEP_3)
	v_cmp_ne_u32_e32 vcc_lo, 0, v3
	v_xor_b32_e32 v3, s22, v13
	v_cndmask_b32_e32 v0, v0, v4, vcc_lo
                                        ; implicit-def: $vgpr4_vgpr5
	s_delay_alu instid0(VALU_DEP_1) | instskip(NEXT) | instid1(VALU_DEP_1)
	v_xor_b32_e32 v0, v0, v3
	v_sub_co_u32 v9, vcc_lo, v0, v3
	s_and_not1_saveexec_b32 s2, s3
	s_cbranch_execz .LBB9_22
.LBB9_24:                               ;   in Loop: Header=BB9_12 Depth=1
	v_mul_hi_u32 v0, v4, v32
	s_delay_alu instid0(VALU_DEP_1) | instskip(NEXT) | instid1(VALU_DEP_1)
	v_mul_lo_u32 v3, v0, s37
	v_sub_nc_u32_e32 v3, v4, v3
	s_delay_alu instid0(VALU_DEP_1) | instskip(SKIP_1) | instid1(VALU_DEP_2)
	v_subrev_nc_u32_e32 v5, s37, v3
	v_cmp_le_u32_e32 vcc_lo, s37, v3
	v_dual_cndmask_b32 v3, v3, v5 :: v_dual_add_nc_u32 v4, 1, v0
	s_delay_alu instid0(VALU_DEP_1) | instskip(NEXT) | instid1(VALU_DEP_2)
	v_cndmask_b32_e32 v0, v0, v4, vcc_lo
	v_cmp_le_u32_e32 vcc_lo, s37, v3
	s_delay_alu instid0(VALU_DEP_2) | instskip(NEXT) | instid1(VALU_DEP_1)
	v_add_nc_u32_e32 v4, 1, v0
	v_cndmask_b32_e32 v9, v0, v4, vcc_lo
	s_or_b32 exec_lo, exec_lo, s2
	s_and_saveexec_b32 s48, s0
	s_cbranch_execz .LBB9_11
.LBB9_25:                               ;   in Loop: Header=BB9_12 Depth=1
	v_mul_lo_u32 v10, v1, s6
	v_mad_u64_u32 v[4:5], null, v7, s41, v[8:9]
	v_add_nc_u32_e32 v33, 1, v9
	s_mov_b32 s49, 0
	s_delay_alu instid0(VALU_DEP_3) | instskip(NEXT) | instid1(VALU_DEP_1)
	v_ashrrev_i32_e32 v11, 31, v10
	v_lshlrev_b64 v[9:10], 2, v[10:11]
	s_delay_alu instid0(VALU_DEP_1)
	v_mad_u64_u32 v[5:6], null, s8, v7, v[8:9]
	v_mov_b32_e32 v6, v30
	v_add_co_u32 v34, vcc_lo, s7, v9
	v_cmp_gt_i32_e64 s2, v33, v4
	v_add_co_ci_u32_e32 v35, vcc_lo, s36, v10, vcc_lo
	s_branch .LBB9_27
.LBB9_26:                               ;   in Loop: Header=BB9_27 Depth=2
	v_add_nc_u32_e32 v6, s44, v6
	s_delay_alu instid0(VALU_DEP_1) | instskip(SKIP_1) | instid1(SALU_CYCLE_1)
	v_cmp_le_i32_e32 vcc_lo, s6, v6
	s_or_b32 s49, vcc_lo, s49
	s_and_not1_b32 exec_lo, exec_lo, s49
	s_cbranch_execz .LBB9_11
.LBB9_27:                               ;   Parent Loop BB9_12 Depth=1
                                        ; =>  This Loop Header: Depth=2
                                        ;       Child Loop BB9_42 Depth 3
                                        ;         Child Loop BB9_54 Depth 4
                                        ;           Child Loop BB9_69 Depth 5
	v_or_b32_e64 v3, 0, s33
	v_mov_b32_e32 v7, v2
                                        ; implicit-def: $vgpr10_vgpr11
	s_mov_b32 s3, exec_lo
	s_delay_alu instid0(VALU_DEP_2)
	v_cmpx_ne_u64_e32 0, v[2:3]
	s_xor_b32 s4, exec_lo, s3
	s_cbranch_execz .LBB9_29
; %bb.28:                               ;   in Loop: Header=BB9_27 Depth=2
	s_add_u32 s24, s40, s33
	s_mov_b32 s22, s33
	s_mov_b32 s23, s33
	s_addc_u32 s25, s33, s33
	s_delay_alu instid0(SALU_CYCLE_1) | instskip(NEXT) | instid1(SALU_CYCLE_1)
	s_xor_b64 s[24:25], s[24:25], s[22:23]
	v_cvt_f32_u32_e32 v0, s24
	v_cvt_f32_u32_e32 v3, s25
	s_sub_u32 s3, 0, s24
	s_subb_u32 s21, 0, s25
	s_delay_alu instid0(VALU_DEP_1) | instskip(NEXT) | instid1(VALU_DEP_1)
	v_fmac_f32_e32 v0, 0x4f800000, v3
	v_rcp_f32_e32 v0, v0
	s_waitcnt_depctr 0xfff
	v_mul_f32_e32 v0, 0x5f7ffffc, v0
	s_delay_alu instid0(VALU_DEP_1) | instskip(NEXT) | instid1(VALU_DEP_1)
	v_mul_f32_e32 v3, 0x2f800000, v0
	v_trunc_f32_e32 v3, v3
	s_delay_alu instid0(VALU_DEP_1) | instskip(SKIP_1) | instid1(VALU_DEP_2)
	v_fmac_f32_e32 v0, 0xcf800000, v3
	v_cvt_u32_f32_e32 v3, v3
	v_cvt_u32_f32_e32 v0, v0
	s_delay_alu instid0(VALU_DEP_2) | instskip(NEXT) | instid1(VALU_DEP_2)
	v_mul_lo_u32 v8, s3, v3
	v_mul_hi_u32 v9, s3, v0
	v_mul_lo_u32 v10, s21, v0
	s_delay_alu instid0(VALU_DEP_2) | instskip(SKIP_1) | instid1(VALU_DEP_2)
	v_add_nc_u32_e32 v8, v9, v8
	v_mul_lo_u32 v9, s3, v0
	v_add_nc_u32_e32 v8, v8, v10
	s_delay_alu instid0(VALU_DEP_2) | instskip(NEXT) | instid1(VALU_DEP_2)
	v_mul_hi_u32 v10, v0, v9
	v_mul_lo_u32 v11, v0, v8
	v_mul_hi_u32 v12, v0, v8
	v_mul_hi_u32 v13, v3, v9
	v_mul_lo_u32 v9, v3, v9
	v_mul_hi_u32 v14, v3, v8
	v_mul_lo_u32 v8, v3, v8
	v_add_co_u32 v10, vcc_lo, v10, v11
	v_add_co_ci_u32_e32 v11, vcc_lo, 0, v12, vcc_lo
	s_delay_alu instid0(VALU_DEP_2) | instskip(NEXT) | instid1(VALU_DEP_2)
	v_add_co_u32 v9, vcc_lo, v10, v9
	v_add_co_ci_u32_e32 v9, vcc_lo, v11, v13, vcc_lo
	v_add_co_ci_u32_e32 v10, vcc_lo, 0, v14, vcc_lo
	v_ashrrev_i32_e64 v14, 31, 0
	s_delay_alu instid0(VALU_DEP_3) | instskip(NEXT) | instid1(VALU_DEP_3)
	v_add_co_u32 v8, vcc_lo, v9, v8
	v_add_co_ci_u32_e32 v9, vcc_lo, 0, v10, vcc_lo
	s_delay_alu instid0(VALU_DEP_2) | instskip(NEXT) | instid1(VALU_DEP_2)
	v_add_co_u32 v0, vcc_lo, v0, v8
	v_add_co_ci_u32_e32 v3, vcc_lo, v3, v9, vcc_lo
	s_delay_alu instid0(VALU_DEP_2) | instskip(SKIP_1) | instid1(VALU_DEP_3)
	v_mul_hi_u32 v8, s3, v0
	v_mul_lo_u32 v10, s21, v0
	v_mul_lo_u32 v9, s3, v3
	s_delay_alu instid0(VALU_DEP_1) | instskip(SKIP_1) | instid1(VALU_DEP_2)
	v_add_nc_u32_e32 v8, v8, v9
	v_mul_lo_u32 v9, s3, v0
	v_add_nc_u32_e32 v8, v8, v10
	s_delay_alu instid0(VALU_DEP_2) | instskip(NEXT) | instid1(VALU_DEP_2)
	v_mul_hi_u32 v10, v0, v9
	v_mul_lo_u32 v11, v0, v8
	v_mul_hi_u32 v12, v0, v8
	v_mul_hi_u32 v13, v3, v9
	v_mul_lo_u32 v9, v3, v9
	v_mul_hi_u32 v15, v3, v8
	v_mul_lo_u32 v8, v3, v8
	v_add_co_u32 v10, vcc_lo, v10, v11
	v_add_co_ci_u32_e32 v11, vcc_lo, 0, v12, vcc_lo
	s_delay_alu instid0(VALU_DEP_2) | instskip(NEXT) | instid1(VALU_DEP_2)
	v_add_co_u32 v9, vcc_lo, v10, v9
	v_add_co_ci_u32_e32 v9, vcc_lo, v11, v13, vcc_lo
	v_add_co_ci_u32_e32 v10, vcc_lo, 0, v15, vcc_lo
	v_add_co_u32 v11, vcc_lo, v6, v14
	v_add_co_ci_u32_e32 v12, vcc_lo, 0, v14, vcc_lo
	s_delay_alu instid0(VALU_DEP_4) | instskip(NEXT) | instid1(VALU_DEP_4)
	v_add_co_u32 v8, vcc_lo, v9, v8
	v_add_co_ci_u32_e32 v9, vcc_lo, 0, v10, vcc_lo
	s_delay_alu instid0(VALU_DEP_4) | instskip(NEXT) | instid1(VALU_DEP_3)
	v_xor_b32_e32 v15, v11, v14
	v_add_co_u32 v0, vcc_lo, v0, v8
	s_delay_alu instid0(VALU_DEP_3) | instskip(SKIP_1) | instid1(VALU_DEP_3)
	v_add_co_ci_u32_e32 v3, vcc_lo, v3, v9, vcc_lo
	v_xor_b32_e32 v16, v12, v14
	v_mul_hi_u32 v17, v15, v0
	s_delay_alu instid0(VALU_DEP_3) | instskip(NEXT) | instid1(VALU_DEP_3)
	v_mad_u64_u32 v[8:9], null, v15, v3, 0
	v_mad_u64_u32 v[10:11], null, v16, v0, 0
	;; [unrolled: 1-line block ×3, first 2 shown]
	s_delay_alu instid0(VALU_DEP_3) | instskip(NEXT) | instid1(VALU_DEP_4)
	v_add_co_u32 v0, vcc_lo, v17, v8
	v_add_co_ci_u32_e32 v3, vcc_lo, 0, v9, vcc_lo
	s_delay_alu instid0(VALU_DEP_2) | instskip(NEXT) | instid1(VALU_DEP_2)
	v_add_co_u32 v0, vcc_lo, v0, v10
	v_add_co_ci_u32_e32 v0, vcc_lo, v3, v11, vcc_lo
	v_add_co_ci_u32_e32 v3, vcc_lo, 0, v13, vcc_lo
	s_delay_alu instid0(VALU_DEP_2) | instskip(NEXT) | instid1(VALU_DEP_2)
	v_add_co_u32 v0, vcc_lo, v0, v12
	v_add_co_ci_u32_e32 v3, vcc_lo, 0, v3, vcc_lo
	s_delay_alu instid0(VALU_DEP_2) | instskip(SKIP_1) | instid1(VALU_DEP_3)
	v_mul_lo_u32 v10, s25, v0
	v_mad_u64_u32 v[8:9], null, s24, v0, 0
	v_mul_lo_u32 v11, s24, v3
	s_delay_alu instid0(VALU_DEP_2) | instskip(NEXT) | instid1(VALU_DEP_2)
	v_sub_co_u32 v8, vcc_lo, v15, v8
	v_add3_u32 v9, v9, v11, v10
	s_delay_alu instid0(VALU_DEP_1) | instskip(NEXT) | instid1(VALU_DEP_1)
	v_sub_nc_u32_e32 v10, v16, v9
	v_subrev_co_ci_u32_e64 v10, s3, s25, v10, vcc_lo
	v_add_co_u32 v11, s3, v0, 2
	s_delay_alu instid0(VALU_DEP_1) | instskip(SKIP_3) | instid1(VALU_DEP_3)
	v_add_co_ci_u32_e64 v12, s3, 0, v3, s3
	v_sub_co_u32 v13, s3, v8, s24
	v_sub_co_ci_u32_e32 v9, vcc_lo, v16, v9, vcc_lo
	v_subrev_co_ci_u32_e64 v10, s3, 0, v10, s3
	v_cmp_le_u32_e32 vcc_lo, s24, v13
	s_delay_alu instid0(VALU_DEP_3) | instskip(SKIP_1) | instid1(VALU_DEP_4)
	v_cmp_eq_u32_e64 s3, s25, v9
	v_cndmask_b32_e64 v13, 0, -1, vcc_lo
	v_cmp_le_u32_e32 vcc_lo, s25, v10
	v_cndmask_b32_e64 v15, 0, -1, vcc_lo
	v_cmp_le_u32_e32 vcc_lo, s24, v8
	;; [unrolled: 2-line block ×3, first 2 shown]
	v_cndmask_b32_e64 v16, 0, -1, vcc_lo
	v_cmp_eq_u32_e32 vcc_lo, s25, v10
	s_delay_alu instid0(VALU_DEP_2) | instskip(SKIP_3) | instid1(VALU_DEP_3)
	v_cndmask_b32_e64 v8, v16, v8, s3
	v_cndmask_b32_e32 v10, v15, v13, vcc_lo
	v_add_co_u32 v13, vcc_lo, v0, 1
	v_add_co_ci_u32_e32 v15, vcc_lo, 0, v3, vcc_lo
	v_cmp_ne_u32_e32 vcc_lo, 0, v10
	s_delay_alu instid0(VALU_DEP_2) | instskip(SKIP_2) | instid1(VALU_DEP_3)
	v_dual_cndmask_b32 v9, v15, v12 :: v_dual_cndmask_b32 v10, v13, v11
	v_cmp_ne_u32_e32 vcc_lo, 0, v8
	v_xor_b32_e32 v8, s22, v14
	v_dual_cndmask_b32 v0, v0, v10 :: v_dual_cndmask_b32 v3, v3, v9
	v_xor_b32_e32 v9, s23, v14
	s_delay_alu instid0(VALU_DEP_2) | instskip(NEXT) | instid1(VALU_DEP_2)
	v_xor_b32_e32 v0, v0, v8
	v_xor_b32_e32 v3, v3, v9
	s_delay_alu instid0(VALU_DEP_2) | instskip(NEXT) | instid1(VALU_DEP_2)
	v_sub_co_u32 v10, vcc_lo, v0, v8
	v_sub_co_ci_u32_e32 v11, vcc_lo, v3, v9, vcc_lo
.LBB9_29:                               ;   in Loop: Header=BB9_27 Depth=2
	s_or_saveexec_b32 s3, s4
	v_cvt_f32_u32_e32 v0, s40
	s_xor_b32 exec_lo, exec_lo, s3
	s_cbranch_execz .LBB9_31
; %bb.30:                               ;   in Loop: Header=BB9_27 Depth=2
	s_delay_alu instid0(VALU_DEP_1) | instskip(SKIP_4) | instid1(VALU_DEP_1)
	v_rcp_iflag_f32_e32 v3, v0
	s_sub_i32 s4, 0, s40
	v_mov_b32_e32 v11, v2
	s_waitcnt_depctr 0xfff
	v_mul_f32_e32 v3, 0x4f7ffffe, v3
	v_cvt_u32_f32_e32 v3, v3
	s_delay_alu instid0(VALU_DEP_1) | instskip(NEXT) | instid1(VALU_DEP_1)
	v_mul_lo_u32 v8, s4, v3
	v_mul_hi_u32 v8, v3, v8
	s_delay_alu instid0(VALU_DEP_1) | instskip(NEXT) | instid1(VALU_DEP_1)
	v_add_nc_u32_e32 v3, v3, v8
	v_mul_hi_u32 v3, v6, v3
	s_delay_alu instid0(VALU_DEP_1) | instskip(SKIP_1) | instid1(VALU_DEP_2)
	v_mul_lo_u32 v8, v3, s40
	v_add_nc_u32_e32 v9, 1, v3
	v_sub_nc_u32_e32 v8, v6, v8
	s_delay_alu instid0(VALU_DEP_1) | instskip(SKIP_1) | instid1(VALU_DEP_2)
	v_subrev_nc_u32_e32 v10, s40, v8
	v_cmp_le_u32_e32 vcc_lo, s40, v8
	v_dual_cndmask_b32 v8, v8, v10 :: v_dual_cndmask_b32 v3, v3, v9
	s_delay_alu instid0(VALU_DEP_1) | instskip(NEXT) | instid1(VALU_DEP_2)
	v_cmp_le_u32_e32 vcc_lo, s40, v8
	v_add_nc_u32_e32 v9, 1, v3
	s_delay_alu instid0(VALU_DEP_1)
	v_cndmask_b32_e32 v10, v3, v9, vcc_lo
.LBB9_31:                               ;   in Loop: Header=BB9_27 Depth=2
	s_or_b32 exec_lo, exec_lo, s3
	v_mul_lo_u32 v3, v11, s40
	s_delay_alu instid0(VALU_DEP_2) | instskip(SKIP_2) | instid1(VALU_DEP_1)
	v_mul_lo_u32 v11, v10, s33
	v_mad_u64_u32 v[8:9], null, v10, s40, 0
                                        ; implicit-def: $vgpr14_vgpr15
	s_mov_b32 s3, exec_lo
	v_add3_u32 v3, v9, v11, v3
	s_delay_alu instid0(VALU_DEP_2) | instskip(NEXT) | instid1(VALU_DEP_2)
	v_sub_co_u32 v11, vcc_lo, v6, v8
	v_sub_co_ci_u32_e32 v3, vcc_lo, 0, v3, vcc_lo
	s_delay_alu instid0(VALU_DEP_2) | instskip(SKIP_1) | instid1(VALU_DEP_3)
	v_mul_lo_u32 v12, v11, s46
	v_mad_u64_u32 v[8:9], null, v11, s42, 0
	v_mul_lo_u32 v3, v3, s42
	s_delay_alu instid0(VALU_DEP_1) | instskip(NEXT) | instid1(VALU_DEP_1)
	v_add3_u32 v9, v9, v12, v3
	v_or_b32_e32 v3, s33, v9
	s_delay_alu instid0(VALU_DEP_1)
	v_cmpx_ne_u64_e32 0, v[2:3]
	s_xor_b32 s4, exec_lo, s3
	s_cbranch_execz .LBB9_33
; %bb.32:                               ;   in Loop: Header=BB9_27 Depth=2
	s_add_u32 s24, s40, s33
	s_mov_b32 s22, s33
	s_mov_b32 s23, s33
	s_addc_u32 s25, s33, s33
	s_delay_alu instid0(SALU_CYCLE_1) | instskip(NEXT) | instid1(SALU_CYCLE_1)
	s_xor_b64 s[24:25], s[24:25], s[22:23]
	v_cvt_f32_u32_e32 v3, s24
	v_cvt_f32_u32_e32 v11, s25
	s_sub_u32 s3, 0, s24
	s_subb_u32 s21, 0, s25
	s_delay_alu instid0(VALU_DEP_1) | instskip(NEXT) | instid1(VALU_DEP_1)
	v_fmac_f32_e32 v3, 0x4f800000, v11
	v_rcp_f32_e32 v3, v3
	s_waitcnt_depctr 0xfff
	v_mul_f32_e32 v3, 0x5f7ffffc, v3
	s_delay_alu instid0(VALU_DEP_1) | instskip(NEXT) | instid1(VALU_DEP_1)
	v_mul_f32_e32 v11, 0x2f800000, v3
	v_trunc_f32_e32 v11, v11
	s_delay_alu instid0(VALU_DEP_1) | instskip(SKIP_1) | instid1(VALU_DEP_2)
	v_fmac_f32_e32 v3, 0xcf800000, v11
	v_cvt_u32_f32_e32 v11, v11
	v_cvt_u32_f32_e32 v3, v3
	s_delay_alu instid0(VALU_DEP_2) | instskip(NEXT) | instid1(VALU_DEP_2)
	v_mul_lo_u32 v12, s3, v11
	v_mul_hi_u32 v13, s3, v3
	v_mul_lo_u32 v14, s21, v3
	s_delay_alu instid0(VALU_DEP_2) | instskip(SKIP_1) | instid1(VALU_DEP_2)
	v_add_nc_u32_e32 v12, v13, v12
	v_mul_lo_u32 v13, s3, v3
	v_add_nc_u32_e32 v12, v12, v14
	s_delay_alu instid0(VALU_DEP_2) | instskip(NEXT) | instid1(VALU_DEP_2)
	v_mul_hi_u32 v14, v3, v13
	v_mul_lo_u32 v15, v3, v12
	v_mul_hi_u32 v16, v3, v12
	v_mul_hi_u32 v17, v11, v13
	v_mul_lo_u32 v13, v11, v13
	v_mul_hi_u32 v18, v11, v12
	v_mul_lo_u32 v12, v11, v12
	v_add_co_u32 v14, vcc_lo, v14, v15
	v_add_co_ci_u32_e32 v15, vcc_lo, 0, v16, vcc_lo
	s_delay_alu instid0(VALU_DEP_2) | instskip(NEXT) | instid1(VALU_DEP_2)
	v_add_co_u32 v13, vcc_lo, v14, v13
	v_add_co_ci_u32_e32 v13, vcc_lo, v15, v17, vcc_lo
	v_add_co_ci_u32_e32 v14, vcc_lo, 0, v18, vcc_lo
	v_ashrrev_i32_e32 v17, 31, v9
	s_delay_alu instid0(VALU_DEP_3) | instskip(NEXT) | instid1(VALU_DEP_3)
	v_add_co_u32 v12, vcc_lo, v13, v12
	v_add_co_ci_u32_e32 v13, vcc_lo, 0, v14, vcc_lo
	s_delay_alu instid0(VALU_DEP_2) | instskip(NEXT) | instid1(VALU_DEP_2)
	v_add_co_u32 v3, vcc_lo, v3, v12
	v_add_co_ci_u32_e32 v11, vcc_lo, v11, v13, vcc_lo
	s_delay_alu instid0(VALU_DEP_2) | instskip(SKIP_1) | instid1(VALU_DEP_3)
	v_mul_hi_u32 v12, s3, v3
	v_mul_lo_u32 v14, s21, v3
	v_mul_lo_u32 v13, s3, v11
	s_delay_alu instid0(VALU_DEP_1) | instskip(SKIP_1) | instid1(VALU_DEP_2)
	v_add_nc_u32_e32 v12, v12, v13
	v_mul_lo_u32 v13, s3, v3
	v_add_nc_u32_e32 v12, v12, v14
	s_delay_alu instid0(VALU_DEP_2) | instskip(NEXT) | instid1(VALU_DEP_2)
	v_mul_hi_u32 v14, v3, v13
	v_mul_lo_u32 v15, v3, v12
	v_mul_hi_u32 v16, v3, v12
	v_mul_hi_u32 v18, v11, v13
	v_mul_lo_u32 v13, v11, v13
	v_mul_hi_u32 v19, v11, v12
	v_mul_lo_u32 v12, v11, v12
	v_add_co_u32 v14, vcc_lo, v14, v15
	v_add_co_ci_u32_e32 v15, vcc_lo, 0, v16, vcc_lo
	s_delay_alu instid0(VALU_DEP_2) | instskip(NEXT) | instid1(VALU_DEP_2)
	v_add_co_u32 v13, vcc_lo, v14, v13
	v_add_co_ci_u32_e32 v13, vcc_lo, v15, v18, vcc_lo
	v_add_co_ci_u32_e32 v14, vcc_lo, 0, v19, vcc_lo
	v_add_co_u32 v8, vcc_lo, v8, v17
	v_add_co_ci_u32_e32 v9, vcc_lo, v9, v17, vcc_lo
	s_delay_alu instid0(VALU_DEP_4) | instskip(NEXT) | instid1(VALU_DEP_4)
	v_add_co_u32 v12, vcc_lo, v13, v12
	v_add_co_ci_u32_e32 v13, vcc_lo, 0, v14, vcc_lo
	s_delay_alu instid0(VALU_DEP_4) | instskip(NEXT) | instid1(VALU_DEP_3)
	v_xor_b32_e32 v15, v8, v17
	v_add_co_u32 v3, vcc_lo, v3, v12
	s_delay_alu instid0(VALU_DEP_3) | instskip(SKIP_1) | instid1(VALU_DEP_3)
	v_add_co_ci_u32_e32 v16, vcc_lo, v11, v13, vcc_lo
	v_xor_b32_e32 v18, v9, v17
	v_mul_hi_u32 v19, v15, v3
	s_delay_alu instid0(VALU_DEP_3) | instskip(NEXT) | instid1(VALU_DEP_3)
	v_mad_u64_u32 v[8:9], null, v15, v16, 0
	v_mad_u64_u32 v[11:12], null, v18, v3, 0
	;; [unrolled: 1-line block ×3, first 2 shown]
	s_delay_alu instid0(VALU_DEP_3) | instskip(NEXT) | instid1(VALU_DEP_4)
	v_add_co_u32 v3, vcc_lo, v19, v8
	v_add_co_ci_u32_e32 v8, vcc_lo, 0, v9, vcc_lo
	s_delay_alu instid0(VALU_DEP_2) | instskip(NEXT) | instid1(VALU_DEP_2)
	v_add_co_u32 v3, vcc_lo, v3, v11
	v_add_co_ci_u32_e32 v3, vcc_lo, v8, v12, vcc_lo
	v_add_co_ci_u32_e32 v8, vcc_lo, 0, v14, vcc_lo
	s_delay_alu instid0(VALU_DEP_2) | instskip(NEXT) | instid1(VALU_DEP_2)
	v_add_co_u32 v3, vcc_lo, v3, v13
	v_add_co_ci_u32_e32 v11, vcc_lo, 0, v8, vcc_lo
	s_delay_alu instid0(VALU_DEP_2) | instskip(SKIP_1) | instid1(VALU_DEP_3)
	v_mul_lo_u32 v12, s25, v3
	v_mad_u64_u32 v[8:9], null, s24, v3, 0
	v_mul_lo_u32 v11, s24, v11
	s_delay_alu instid0(VALU_DEP_2) | instskip(NEXT) | instid1(VALU_DEP_2)
	v_sub_co_u32 v8, vcc_lo, v15, v8
	v_add3_u32 v9, v9, v11, v12
	v_add_co_u32 v12, s3, v3, 2
	s_delay_alu instid0(VALU_DEP_2) | instskip(NEXT) | instid1(VALU_DEP_1)
	v_sub_nc_u32_e32 v11, v18, v9
	v_subrev_co_ci_u32_e64 v11, s3, s25, v11, vcc_lo
	v_sub_co_u32 v13, s3, v8, s24
	v_sub_co_ci_u32_e32 v9, vcc_lo, v18, v9, vcc_lo
	s_delay_alu instid0(VALU_DEP_3) | instskip(NEXT) | instid1(VALU_DEP_3)
	v_subrev_co_ci_u32_e64 v11, s3, 0, v11, s3
	v_cmp_le_u32_e32 vcc_lo, s24, v13
	v_cndmask_b32_e64 v13, 0, -1, vcc_lo
	s_delay_alu instid0(VALU_DEP_3)
	v_cmp_le_u32_e32 vcc_lo, s25, v11
	v_cndmask_b32_e64 v14, 0, -1, vcc_lo
	v_cmp_le_u32_e32 vcc_lo, s24, v8
	v_cndmask_b32_e64 v8, 0, -1, vcc_lo
	v_cmp_le_u32_e32 vcc_lo, s25, v9
	v_cndmask_b32_e64 v15, 0, -1, vcc_lo
	v_cmp_eq_u32_e32 vcc_lo, s25, v11
	v_cndmask_b32_e32 v11, v14, v13, vcc_lo
	v_add_co_u32 v13, vcc_lo, v3, 1
	v_cmp_eq_u32_e32 vcc_lo, s25, v9
	v_cndmask_b32_e32 v8, v15, v8, vcc_lo
	s_delay_alu instid0(VALU_DEP_4) | instskip(NEXT) | instid1(VALU_DEP_4)
	v_cmp_ne_u32_e32 vcc_lo, 0, v11
	v_cndmask_b32_e32 v9, v13, v12, vcc_lo
	s_delay_alu instid0(VALU_DEP_3) | instskip(SKIP_1) | instid1(VALU_DEP_3)
	v_cmp_ne_u32_e32 vcc_lo, 0, v8
	v_xor_b32_e32 v8, s22, v17
	v_cndmask_b32_e32 v3, v3, v9, vcc_lo
	s_delay_alu instid0(VALU_DEP_1) | instskip(NEXT) | instid1(VALU_DEP_1)
	v_xor_b32_e32 v3, v3, v8
	v_sub_co_u32 v14, vcc_lo, v3, v8
                                        ; implicit-def: $vgpr8_vgpr9
.LBB9_33:                               ;   in Loop: Header=BB9_27 Depth=2
	s_and_not1_saveexec_b32 s3, s4
	s_cbranch_execz .LBB9_35
; %bb.34:                               ;   in Loop: Header=BB9_27 Depth=2
	v_rcp_iflag_f32_e32 v3, v0
	s_sub_i32 s4, 0, s40
	s_waitcnt_depctr 0xfff
	v_mul_f32_e32 v3, 0x4f7ffffe, v3
	s_delay_alu instid0(VALU_DEP_1) | instskip(NEXT) | instid1(VALU_DEP_1)
	v_cvt_u32_f32_e32 v3, v3
	v_mul_lo_u32 v9, s4, v3
	s_delay_alu instid0(VALU_DEP_1) | instskip(NEXT) | instid1(VALU_DEP_1)
	v_mul_hi_u32 v9, v3, v9
	v_add_nc_u32_e32 v3, v3, v9
	s_delay_alu instid0(VALU_DEP_1) | instskip(NEXT) | instid1(VALU_DEP_1)
	v_mul_hi_u32 v3, v8, v3
	v_mul_lo_u32 v9, v3, s40
	s_delay_alu instid0(VALU_DEP_1) | instskip(SKIP_1) | instid1(VALU_DEP_2)
	v_sub_nc_u32_e32 v8, v8, v9
	v_add_nc_u32_e32 v9, 1, v3
	v_subrev_nc_u32_e32 v11, s40, v8
	v_cmp_le_u32_e32 vcc_lo, s40, v8
	s_delay_alu instid0(VALU_DEP_2) | instskip(NEXT) | instid1(VALU_DEP_1)
	v_dual_cndmask_b32 v8, v8, v11 :: v_dual_cndmask_b32 v3, v3, v9
	v_cmp_le_u32_e32 vcc_lo, s40, v8
	s_delay_alu instid0(VALU_DEP_2) | instskip(NEXT) | instid1(VALU_DEP_1)
	v_add_nc_u32_e32 v9, 1, v3
	v_cndmask_b32_e32 v14, v3, v9, vcc_lo
.LBB9_35:                               ;   in Loop: Header=BB9_27 Depth=2
	s_or_b32 exec_lo, exec_lo, s3
	v_add_co_u32 v3, s3, v6, 1
	s_delay_alu instid0(VALU_DEP_1) | instskip(SKIP_1) | instid1(VALU_DEP_2)
	v_add_co_ci_u32_e64 v8, null, 0, 0, s3
	s_mov_b32 s3, exec_lo
	v_mul_lo_u32 v11, v3, s46
	s_delay_alu instid0(VALU_DEP_2) | instskip(SKIP_1) | instid1(VALU_DEP_1)
	v_mul_lo_u32 v12, v8, s42
	v_mad_u64_u32 v[8:9], null, v3, s42, -1
	v_add3_u32 v9, v12, v9, v11
                                        ; implicit-def: $vgpr11_vgpr12
	s_delay_alu instid0(VALU_DEP_1) | instskip(NEXT) | instid1(VALU_DEP_1)
	v_or_b32_e32 v3, s33, v9
	v_cmpx_ne_u64_e32 0, v[2:3]
	s_xor_b32 s4, exec_lo, s3
	s_cbranch_execnz .LBB9_38
; %bb.36:                               ;   in Loop: Header=BB9_27 Depth=2
	s_and_not1_saveexec_b32 s3, s4
	s_cbranch_execnz .LBB9_39
.LBB9_37:                               ;   in Loop: Header=BB9_27 Depth=2
	s_or_b32 exec_lo, exec_lo, s3
	s_delay_alu instid0(SALU_CYCLE_1)
	s_and_not1_b32 vcc_lo, exec_lo, s1
	s_cbranch_vccnz .LBB9_26
	s_branch .LBB9_40
.LBB9_38:                               ;   in Loop: Header=BB9_27 Depth=2
	s_add_u32 s24, s40, s33
	s_mov_b32 s22, s33
	s_mov_b32 s23, s33
	s_addc_u32 s25, s33, s33
	s_delay_alu instid0(SALU_CYCLE_1) | instskip(NEXT) | instid1(SALU_CYCLE_1)
	s_xor_b64 s[24:25], s[24:25], s[22:23]
	v_cvt_f32_u32_e32 v0, s24
	v_cvt_f32_u32_e32 v3, s25
	s_sub_u32 s3, 0, s24
	s_subb_u32 s21, 0, s25
	s_delay_alu instid0(VALU_DEP_1) | instskip(NEXT) | instid1(VALU_DEP_1)
	v_fmac_f32_e32 v0, 0x4f800000, v3
	v_rcp_f32_e32 v0, v0
	s_waitcnt_depctr 0xfff
	v_mul_f32_e32 v0, 0x5f7ffffc, v0
	s_delay_alu instid0(VALU_DEP_1) | instskip(NEXT) | instid1(VALU_DEP_1)
	v_mul_f32_e32 v3, 0x2f800000, v0
	v_trunc_f32_e32 v3, v3
	s_delay_alu instid0(VALU_DEP_1) | instskip(SKIP_1) | instid1(VALU_DEP_2)
	v_fmac_f32_e32 v0, 0xcf800000, v3
	v_cvt_u32_f32_e32 v3, v3
	v_cvt_u32_f32_e32 v0, v0
	s_delay_alu instid0(VALU_DEP_2) | instskip(NEXT) | instid1(VALU_DEP_2)
	v_mul_lo_u32 v11, s3, v3
	v_mul_hi_u32 v12, s3, v0
	v_mul_lo_u32 v13, s21, v0
	s_delay_alu instid0(VALU_DEP_2) | instskip(SKIP_1) | instid1(VALU_DEP_2)
	v_add_nc_u32_e32 v11, v12, v11
	v_mul_lo_u32 v12, s3, v0
	v_add_nc_u32_e32 v11, v11, v13
	s_delay_alu instid0(VALU_DEP_2) | instskip(NEXT) | instid1(VALU_DEP_2)
	v_mul_hi_u32 v13, v0, v12
	v_mul_lo_u32 v15, v0, v11
	v_mul_hi_u32 v16, v0, v11
	v_mul_hi_u32 v17, v3, v12
	v_mul_lo_u32 v12, v3, v12
	v_mul_hi_u32 v18, v3, v11
	v_mul_lo_u32 v11, v3, v11
	v_add_co_u32 v13, vcc_lo, v13, v15
	v_add_co_ci_u32_e32 v15, vcc_lo, 0, v16, vcc_lo
	s_delay_alu instid0(VALU_DEP_2) | instskip(NEXT) | instid1(VALU_DEP_2)
	v_add_co_u32 v12, vcc_lo, v13, v12
	v_add_co_ci_u32_e32 v12, vcc_lo, v15, v17, vcc_lo
	v_add_co_ci_u32_e32 v13, vcc_lo, 0, v18, vcc_lo
	v_ashrrev_i32_e32 v17, 31, v9
	s_delay_alu instid0(VALU_DEP_3) | instskip(NEXT) | instid1(VALU_DEP_3)
	v_add_co_u32 v11, vcc_lo, v12, v11
	v_add_co_ci_u32_e32 v12, vcc_lo, 0, v13, vcc_lo
	s_delay_alu instid0(VALU_DEP_2) | instskip(NEXT) | instid1(VALU_DEP_2)
	v_add_co_u32 v0, vcc_lo, v0, v11
	v_add_co_ci_u32_e32 v3, vcc_lo, v3, v12, vcc_lo
	s_delay_alu instid0(VALU_DEP_2) | instskip(SKIP_1) | instid1(VALU_DEP_3)
	v_mul_hi_u32 v11, s3, v0
	v_mul_lo_u32 v13, s21, v0
	v_mul_lo_u32 v12, s3, v3
	s_delay_alu instid0(VALU_DEP_1) | instskip(SKIP_1) | instid1(VALU_DEP_2)
	v_add_nc_u32_e32 v11, v11, v12
	v_mul_lo_u32 v12, s3, v0
	v_add_nc_u32_e32 v11, v11, v13
	s_delay_alu instid0(VALU_DEP_2) | instskip(NEXT) | instid1(VALU_DEP_2)
	v_mul_hi_u32 v13, v0, v12
	v_mul_lo_u32 v15, v0, v11
	v_mul_hi_u32 v16, v0, v11
	v_mul_hi_u32 v18, v3, v12
	v_mul_lo_u32 v12, v3, v12
	v_mul_hi_u32 v19, v3, v11
	v_mul_lo_u32 v11, v3, v11
	v_add_co_u32 v13, vcc_lo, v13, v15
	v_add_co_ci_u32_e32 v15, vcc_lo, 0, v16, vcc_lo
	s_delay_alu instid0(VALU_DEP_2) | instskip(NEXT) | instid1(VALU_DEP_2)
	v_add_co_u32 v12, vcc_lo, v13, v12
	v_add_co_ci_u32_e32 v12, vcc_lo, v15, v18, vcc_lo
	v_add_co_ci_u32_e32 v13, vcc_lo, 0, v19, vcc_lo
	v_add_co_u32 v8, vcc_lo, v8, v17
	v_add_co_ci_u32_e32 v9, vcc_lo, v9, v17, vcc_lo
	s_delay_alu instid0(VALU_DEP_4) | instskip(NEXT) | instid1(VALU_DEP_4)
	v_add_co_u32 v11, vcc_lo, v12, v11
	v_add_co_ci_u32_e32 v12, vcc_lo, 0, v13, vcc_lo
	s_delay_alu instid0(VALU_DEP_4) | instskip(NEXT) | instid1(VALU_DEP_3)
	v_xor_b32_e32 v13, v8, v17
	v_add_co_u32 v0, vcc_lo, v0, v11
	s_delay_alu instid0(VALU_DEP_3) | instskip(SKIP_1) | instid1(VALU_DEP_3)
	v_add_co_ci_u32_e32 v3, vcc_lo, v3, v12, vcc_lo
	v_xor_b32_e32 v18, v9, v17
	v_mul_hi_u32 v19, v13, v0
	s_delay_alu instid0(VALU_DEP_3) | instskip(NEXT) | instid1(VALU_DEP_3)
	v_mad_u64_u32 v[8:9], null, v13, v3, 0
	v_mad_u64_u32 v[11:12], null, v18, v0, 0
	;; [unrolled: 1-line block ×3, first 2 shown]
	s_delay_alu instid0(VALU_DEP_3) | instskip(NEXT) | instid1(VALU_DEP_4)
	v_add_co_u32 v0, vcc_lo, v19, v8
	v_add_co_ci_u32_e32 v3, vcc_lo, 0, v9, vcc_lo
	s_delay_alu instid0(VALU_DEP_2) | instskip(NEXT) | instid1(VALU_DEP_2)
	v_add_co_u32 v0, vcc_lo, v0, v11
	v_add_co_ci_u32_e32 v0, vcc_lo, v3, v12, vcc_lo
	v_add_co_ci_u32_e32 v3, vcc_lo, 0, v16, vcc_lo
	s_delay_alu instid0(VALU_DEP_2) | instskip(NEXT) | instid1(VALU_DEP_2)
	v_add_co_u32 v0, vcc_lo, v0, v15
	v_add_co_ci_u32_e32 v3, vcc_lo, 0, v3, vcc_lo
	s_delay_alu instid0(VALU_DEP_2) | instskip(SKIP_1) | instid1(VALU_DEP_3)
	v_mul_lo_u32 v11, s25, v0
	v_mad_u64_u32 v[8:9], null, s24, v0, 0
	v_mul_lo_u32 v3, s24, v3
	s_delay_alu instid0(VALU_DEP_2) | instskip(NEXT) | instid1(VALU_DEP_2)
	v_sub_co_u32 v8, vcc_lo, v13, v8
	v_add3_u32 v3, v9, v3, v11
	v_add_co_u32 v11, s3, v0, 2
	s_delay_alu instid0(VALU_DEP_2) | instskip(NEXT) | instid1(VALU_DEP_1)
	v_sub_nc_u32_e32 v9, v18, v3
	v_subrev_co_ci_u32_e64 v9, s3, s25, v9, vcc_lo
	v_sub_co_u32 v12, s3, v8, s24
	v_sub_co_ci_u32_e32 v3, vcc_lo, v18, v3, vcc_lo
	s_delay_alu instid0(VALU_DEP_3) | instskip(NEXT) | instid1(VALU_DEP_3)
	v_subrev_co_ci_u32_e64 v9, s3, 0, v9, s3
	v_cmp_le_u32_e32 vcc_lo, s24, v12
	v_cndmask_b32_e64 v12, 0, -1, vcc_lo
	s_delay_alu instid0(VALU_DEP_3)
	v_cmp_le_u32_e32 vcc_lo, s25, v9
	v_cndmask_b32_e64 v13, 0, -1, vcc_lo
	v_cmp_le_u32_e32 vcc_lo, s24, v8
	v_cndmask_b32_e64 v8, 0, -1, vcc_lo
	;; [unrolled: 2-line block ×3, first 2 shown]
	v_cmp_eq_u32_e32 vcc_lo, s25, v9
	v_cndmask_b32_e32 v9, v13, v12, vcc_lo
	v_add_co_u32 v12, vcc_lo, v0, 1
	v_cmp_eq_u32_e32 vcc_lo, s25, v3
	v_cndmask_b32_e32 v3, v15, v8, vcc_lo
	s_delay_alu instid0(VALU_DEP_4) | instskip(NEXT) | instid1(VALU_DEP_4)
	v_cmp_ne_u32_e32 vcc_lo, 0, v9
	v_cndmask_b32_e32 v8, v12, v11, vcc_lo
	s_delay_alu instid0(VALU_DEP_3) | instskip(SKIP_1) | instid1(VALU_DEP_3)
	v_cmp_ne_u32_e32 vcc_lo, 0, v3
	v_xor_b32_e32 v3, s22, v17
	v_cndmask_b32_e32 v0, v0, v8, vcc_lo
                                        ; implicit-def: $vgpr8_vgpr9
	s_delay_alu instid0(VALU_DEP_1) | instskip(NEXT) | instid1(VALU_DEP_1)
	v_xor_b32_e32 v0, v0, v3
	v_sub_co_u32 v11, vcc_lo, v0, v3
                                        ; implicit-def: $vgpr0
	s_and_not1_saveexec_b32 s3, s4
	s_cbranch_execz .LBB9_37
.LBB9_39:                               ;   in Loop: Header=BB9_27 Depth=2
	v_rcp_iflag_f32_e32 v0, v0
	s_sub_i32 s4, 0, s40
	s_waitcnt_depctr 0xfff
	v_mul_f32_e32 v0, 0x4f7ffffe, v0
	s_delay_alu instid0(VALU_DEP_1) | instskip(NEXT) | instid1(VALU_DEP_1)
	v_cvt_u32_f32_e32 v0, v0
	v_mul_lo_u32 v3, s4, v0
	s_delay_alu instid0(VALU_DEP_1) | instskip(NEXT) | instid1(VALU_DEP_1)
	v_mul_hi_u32 v3, v0, v3
	v_add_nc_u32_e32 v0, v0, v3
	s_delay_alu instid0(VALU_DEP_1) | instskip(NEXT) | instid1(VALU_DEP_1)
	v_mul_hi_u32 v0, v8, v0
	v_mul_lo_u32 v3, v0, s40
	s_delay_alu instid0(VALU_DEP_1) | instskip(SKIP_1) | instid1(VALU_DEP_2)
	v_sub_nc_u32_e32 v3, v8, v3
	v_add_nc_u32_e32 v8, 1, v0
	v_subrev_nc_u32_e32 v9, s40, v3
	v_cmp_le_u32_e32 vcc_lo, s40, v3
	s_delay_alu instid0(VALU_DEP_2) | instskip(NEXT) | instid1(VALU_DEP_1)
	v_dual_cndmask_b32 v3, v3, v9 :: v_dual_cndmask_b32 v0, v0, v8
	v_cmp_le_u32_e32 vcc_lo, s40, v3
	s_delay_alu instid0(VALU_DEP_2) | instskip(NEXT) | instid1(VALU_DEP_1)
	v_add_nc_u32_e32 v8, 1, v0
	v_cndmask_b32_e32 v11, v0, v8, vcc_lo
	s_or_b32 exec_lo, exec_lo, s3
	s_delay_alu instid0(SALU_CYCLE_1)
	s_and_not1_b32 vcc_lo, exec_lo, s1
	s_cbranch_vccnz .LBB9_26
.LBB9_40:                               ;   in Loop: Header=BB9_27 Depth=2
	v_mad_u64_u32 v[8:9], null, v10, s42, v[14:15]
	v_lshlrev_b64 v[15:16], 2, v[6:7]
	v_add_nc_u32_e32 v36, 1, v11
	v_add_nc_u32_e32 v7, v5, v10
	s_mov_b64 s[22:23], s[14:15]
	s_mov_b32 s24, s16
	s_delay_alu instid0(VALU_DEP_4) | instskip(SKIP_2) | instid1(VALU_DEP_3)
	v_ashrrev_i32_e32 v9, 31, v8
	v_add_co_u32 v0, vcc_lo, v8, 1
	v_mad_u64_u32 v[12:13], null, s9, v7, v[14:15]
	v_add_co_ci_u32_e32 v3, vcc_lo, 0, v9, vcc_lo
	s_delay_alu instid0(VALU_DEP_3) | instskip(SKIP_1) | instid1(VALU_DEP_3)
	v_mul_lo_u32 v17, s33, v0
	v_mad_u64_u32 v[10:11], null, s40, v0, -1
	v_mul_lo_u32 v3, s40, v3
	v_add_co_u32 v13, vcc_lo, v34, v15
	v_add_co_ci_u32_e32 v14, vcc_lo, v35, v16, vcc_lo
	v_cmp_gt_i32_e64 s3, v36, v8
	s_delay_alu instid0(VALU_DEP_4)
	v_add3_u32 v11, v17, v11, v3
	s_branch .LBB9_42
.LBB9_41:                               ;   in Loop: Header=BB9_42 Depth=3
	s_or_b32 exec_lo, exec_lo, s21
	s_add_i32 s24, s24, 1
	s_add_u32 s22, s22, s18
	v_cmp_lt_i32_e32 vcc_lo, s24, v29
	s_addc_u32 s23, s23, s19
	s_cbranch_vccz .LBB9_26
.LBB9_42:                               ;   Parent Loop BB9_12 Depth=1
                                        ;     Parent Loop BB9_27 Depth=2
                                        ; =>    This Loop Header: Depth=3
                                        ;         Child Loop BB9_54 Depth 4
                                        ;           Child Loop BB9_69 Depth 5
	s_ashr_i32 s25, s24, 31
	s_add_u32 s4, s24, 1
	s_addc_u32 s27, s25, 0
	s_mul_i32 s21, s4, s11
	s_mul_hi_u32 s26, s4, s10
	s_mul_i32 s27, s27, s10
	s_add_i32 s21, s26, s21
	s_mul_i32 s4, s4, s10
	s_add_i32 s21, s21, s27
	s_add_u32 s26, s4, -1
	s_addc_u32 s27, s21, -1
	s_delay_alu instid0(SALU_CYCLE_1) | instskip(NEXT) | instid1(SALU_CYCLE_1)
	s_or_b64 s[28:29], s[26:27], s[12:13]
	s_mov_b32 s21, s29
	s_delay_alu instid0(SALU_CYCLE_1)
	s_cmp_lg_u64 s[20:21], 0
	s_cbranch_scc0 .LBB9_81
; %bb.43:                               ;   in Loop: Header=BB9_42 Depth=3
	s_add_u32 s30, s12, s13
	s_mov_b32 s28, s13
	s_mov_b32 s29, s13
	s_addc_u32 s31, s13, s13
	s_delay_alu instid0(SALU_CYCLE_1) | instskip(NEXT) | instid1(SALU_CYCLE_1)
	s_xor_b64 s[30:31], s[30:31], s[28:29]
	v_cvt_f32_u32_e32 v0, s30
	v_cvt_f32_u32_e32 v3, s31
	s_sub_u32 s4, 0, s30
	s_subb_u32 s21, 0, s31
	s_ashr_i32 s34, s27, 31
	s_delay_alu instid0(VALU_DEP_1)
	v_fmac_f32_e32 v0, 0x4f800000, v3
	s_add_u32 s50, s26, s34
	s_mov_b32 s35, s34
	s_addc_u32 s51, s27, s34
	s_xor_b64 s[28:29], s[34:35], s[28:29]
	v_rcp_f32_e32 v0, v0
	s_xor_b64 s[50:51], s[50:51], s[34:35]
	s_waitcnt_depctr 0xfff
	v_mul_f32_e32 v0, 0x5f7ffffc, v0
	s_delay_alu instid0(VALU_DEP_1) | instskip(NEXT) | instid1(VALU_DEP_1)
	v_mul_f32_e32 v3, 0x2f800000, v0
	v_trunc_f32_e32 v3, v3
	s_delay_alu instid0(VALU_DEP_1) | instskip(SKIP_1) | instid1(VALU_DEP_2)
	v_fmac_f32_e32 v0, 0xcf800000, v3
	v_cvt_u32_f32_e32 v3, v3
	v_cvt_u32_f32_e32 v0, v0
	s_delay_alu instid0(VALU_DEP_2) | instskip(NEXT) | instid1(VALU_DEP_2)
	v_mul_lo_u32 v7, s4, v3
	v_mul_hi_u32 v15, s4, v0
	v_mul_lo_u32 v16, s21, v0
	s_delay_alu instid0(VALU_DEP_2) | instskip(SKIP_1) | instid1(VALU_DEP_2)
	v_add_nc_u32_e32 v7, v15, v7
	v_mul_lo_u32 v15, s4, v0
	v_add_nc_u32_e32 v7, v7, v16
	s_delay_alu instid0(VALU_DEP_2) | instskip(NEXT) | instid1(VALU_DEP_2)
	v_mul_hi_u32 v16, v0, v15
	v_mul_lo_u32 v17, v0, v7
	v_mul_hi_u32 v18, v0, v7
	v_mul_hi_u32 v19, v3, v15
	v_mul_lo_u32 v15, v3, v15
	v_mul_hi_u32 v20, v3, v7
	v_mul_lo_u32 v7, v3, v7
	v_add_co_u32 v16, vcc_lo, v16, v17
	v_add_co_ci_u32_e32 v17, vcc_lo, 0, v18, vcc_lo
	s_delay_alu instid0(VALU_DEP_2) | instskip(NEXT) | instid1(VALU_DEP_2)
	v_add_co_u32 v15, vcc_lo, v16, v15
	v_add_co_ci_u32_e32 v15, vcc_lo, v17, v19, vcc_lo
	v_add_co_ci_u32_e32 v16, vcc_lo, 0, v20, vcc_lo
	s_delay_alu instid0(VALU_DEP_2) | instskip(NEXT) | instid1(VALU_DEP_2)
	v_add_co_u32 v7, vcc_lo, v15, v7
	v_add_co_ci_u32_e32 v15, vcc_lo, 0, v16, vcc_lo
	s_delay_alu instid0(VALU_DEP_2) | instskip(NEXT) | instid1(VALU_DEP_2)
	v_add_co_u32 v0, vcc_lo, v0, v7
	v_add_co_ci_u32_e32 v3, vcc_lo, v3, v15, vcc_lo
	s_delay_alu instid0(VALU_DEP_2) | instskip(SKIP_1) | instid1(VALU_DEP_3)
	v_mul_hi_u32 v7, s4, v0
	v_mul_lo_u32 v16, s21, v0
	v_mul_lo_u32 v15, s4, v3
	s_delay_alu instid0(VALU_DEP_1) | instskip(SKIP_1) | instid1(VALU_DEP_2)
	v_add_nc_u32_e32 v7, v7, v15
	v_mul_lo_u32 v15, s4, v0
	v_add_nc_u32_e32 v7, v7, v16
	s_delay_alu instid0(VALU_DEP_2) | instskip(NEXT) | instid1(VALU_DEP_2)
	v_mul_hi_u32 v16, v0, v15
	v_mul_lo_u32 v17, v0, v7
	v_mul_hi_u32 v18, v0, v7
	v_mul_hi_u32 v19, v3, v15
	v_mul_lo_u32 v15, v3, v15
	v_mul_hi_u32 v20, v3, v7
	v_mul_lo_u32 v7, v3, v7
	v_add_co_u32 v16, vcc_lo, v16, v17
	v_add_co_ci_u32_e32 v17, vcc_lo, 0, v18, vcc_lo
	s_delay_alu instid0(VALU_DEP_2) | instskip(NEXT) | instid1(VALU_DEP_2)
	v_add_co_u32 v15, vcc_lo, v16, v15
	v_add_co_ci_u32_e32 v15, vcc_lo, v17, v19, vcc_lo
	v_add_co_ci_u32_e32 v16, vcc_lo, 0, v20, vcc_lo
	s_delay_alu instid0(VALU_DEP_2) | instskip(NEXT) | instid1(VALU_DEP_2)
	v_add_co_u32 v7, vcc_lo, v15, v7
	v_add_co_ci_u32_e32 v15, vcc_lo, 0, v16, vcc_lo
	s_delay_alu instid0(VALU_DEP_2) | instskip(NEXT) | instid1(VALU_DEP_2)
	v_add_co_u32 v0, vcc_lo, v0, v7
	v_add_co_ci_u32_e32 v3, vcc_lo, v3, v15, vcc_lo
	s_delay_alu instid0(VALU_DEP_2) | instskip(SKIP_1) | instid1(VALU_DEP_3)
	v_mul_hi_u32 v7, s50, v0
	v_mul_hi_u32 v17, s51, v0
	v_mul_lo_u32 v15, s50, v3
	v_mul_hi_u32 v16, s50, v3
	v_mul_lo_u32 v0, s51, v0
	;; [unrolled: 2-line block ×3, first 2 shown]
	v_add_co_u32 v7, vcc_lo, v7, v15
	v_add_co_ci_u32_e32 v15, vcc_lo, 0, v16, vcc_lo
	s_delay_alu instid0(VALU_DEP_2) | instskip(NEXT) | instid1(VALU_DEP_2)
	v_add_co_u32 v0, vcc_lo, v7, v0
	v_add_co_ci_u32_e32 v0, vcc_lo, v15, v17, vcc_lo
	v_add_co_ci_u32_e32 v7, vcc_lo, 0, v18, vcc_lo
	s_delay_alu instid0(VALU_DEP_2) | instskip(NEXT) | instid1(VALU_DEP_2)
	v_add_co_u32 v0, vcc_lo, v0, v3
	v_add_co_ci_u32_e32 v3, vcc_lo, 0, v7, vcc_lo
	s_delay_alu instid0(VALU_DEP_2) | instskip(SKIP_1) | instid1(VALU_DEP_3)
	v_mul_hi_u32 v7, s30, v0
	v_mul_lo_u32 v15, s31, v0
	v_mul_lo_u32 v3, s30, v3
	v_add_co_u32 v16, s4, v0, 1
	s_delay_alu instid0(VALU_DEP_2) | instskip(SKIP_1) | instid1(VALU_DEP_2)
	v_add_nc_u32_e32 v3, v7, v3
	v_mul_lo_u32 v7, s30, v0
	v_add_nc_u32_e32 v3, v3, v15
	s_delay_alu instid0(VALU_DEP_2) | instskip(NEXT) | instid1(VALU_DEP_2)
	v_sub_co_u32 v7, vcc_lo, s50, v7
	v_sub_nc_u32_e32 v15, s51, v3
	s_delay_alu instid0(VALU_DEP_1) | instskip(NEXT) | instid1(VALU_DEP_3)
	v_subrev_co_ci_u32_e64 v15, s4, s31, v15, vcc_lo
	v_sub_co_u32 v17, s4, v7, s30
	v_sub_co_ci_u32_e32 v3, vcc_lo, s51, v3, vcc_lo
	s_delay_alu instid0(VALU_DEP_3) | instskip(NEXT) | instid1(VALU_DEP_3)
	v_subrev_co_ci_u32_e64 v15, s4, 0, v15, s4
	v_cmp_le_u32_e32 vcc_lo, s30, v17
	v_cndmask_b32_e64 v17, 0, -1, vcc_lo
	s_delay_alu instid0(VALU_DEP_3)
	v_cmp_le_u32_e32 vcc_lo, s31, v15
	v_cndmask_b32_e64 v18, 0, -1, vcc_lo
	v_cmp_le_u32_e32 vcc_lo, s30, v7
	v_cndmask_b32_e64 v7, 0, -1, vcc_lo
	;; [unrolled: 2-line block ×3, first 2 shown]
	v_cmp_eq_u32_e32 vcc_lo, s31, v15
	v_cndmask_b32_e32 v15, v18, v17, vcc_lo
	v_add_co_u32 v17, vcc_lo, v0, 2
	v_cmp_eq_u32_e32 vcc_lo, s31, v3
	v_cndmask_b32_e32 v3, v19, v7, vcc_lo
	s_delay_alu instid0(VALU_DEP_4) | instskip(NEXT) | instid1(VALU_DEP_4)
	v_cmp_ne_u32_e32 vcc_lo, 0, v15
	v_cndmask_b32_e32 v7, v16, v17, vcc_lo
	s_delay_alu instid0(VALU_DEP_3) | instskip(NEXT) | instid1(VALU_DEP_2)
	v_cmp_ne_u32_e32 vcc_lo, 0, v3
	v_cndmask_b32_e32 v0, v0, v7, vcc_lo
	s_delay_alu instid0(VALU_DEP_1) | instskip(NEXT) | instid1(VALU_DEP_1)
	v_xor_b32_e32 v0, s28, v0
	v_sub_co_u32 v15, vcc_lo, v0, s28
	v_cvt_f32_u32_e32 v0, s12
	s_cbranch_execnz .LBB9_45
.LBB9_44:                               ;   in Loop: Header=BB9_42 Depth=3
	s_delay_alu instid0(VALU_DEP_1) | instskip(SKIP_3) | instid1(VALU_DEP_1)
	v_rcp_iflag_f32_e32 v3, v0
	s_sub_i32 s4, 0, s12
	s_waitcnt_depctr 0xfff
	v_mul_f32_e32 v3, 0x4f7ffffe, v3
	v_cvt_u32_f32_e32 v3, v3
	s_delay_alu instid0(VALU_DEP_1) | instskip(NEXT) | instid1(VALU_DEP_1)
	v_mul_lo_u32 v7, s4, v3
	v_mul_hi_u32 v7, v3, v7
	s_delay_alu instid0(VALU_DEP_1) | instskip(NEXT) | instid1(VALU_DEP_1)
	v_add_nc_u32_e32 v3, v3, v7
	v_mul_hi_u32 v3, s26, v3
	s_delay_alu instid0(VALU_DEP_1) | instskip(SKIP_1) | instid1(VALU_DEP_2)
	v_mul_lo_u32 v7, v3, s12
	v_add_nc_u32_e32 v15, 1, v3
	v_sub_nc_u32_e32 v7, s26, v7
	s_delay_alu instid0(VALU_DEP_1) | instskip(SKIP_1) | instid1(VALU_DEP_2)
	v_subrev_nc_u32_e32 v16, s12, v7
	v_cmp_le_u32_e32 vcc_lo, s12, v7
	v_cndmask_b32_e32 v7, v7, v16, vcc_lo
	v_cndmask_b32_e32 v3, v3, v15, vcc_lo
	s_delay_alu instid0(VALU_DEP_2) | instskip(NEXT) | instid1(VALU_DEP_2)
	v_cmp_le_u32_e32 vcc_lo, s12, v7
	v_add_nc_u32_e32 v15, 1, v3
	s_delay_alu instid0(VALU_DEP_1)
	v_cndmask_b32_e32 v15, v3, v15, vcc_lo
.LBB9_45:                               ;   in Loop: Header=BB9_42 Depth=3
	s_or_b64 s[26:27], s[24:25], s[12:13]
	s_delay_alu instid0(SALU_CYCLE_1) | instskip(NEXT) | instid1(SALU_CYCLE_1)
	s_mov_b32 s21, s27
	s_cmp_lg_u64 s[20:21], 0
	s_cbranch_scc0 .LBB9_82
; %bb.46:                               ;   in Loop: Header=BB9_42 Depth=3
	s_add_u32 s28, s12, s13
	s_mov_b32 s26, s13
	s_mov_b32 s27, s13
	s_addc_u32 s29, s13, s13
	s_delay_alu instid0(SALU_CYCLE_1) | instskip(NEXT) | instid1(SALU_CYCLE_1)
	s_xor_b64 s[28:29], s[28:29], s[26:27]
	v_cvt_f32_u32_e32 v3, s28
	v_cvt_f32_u32_e32 v7, s29
	s_sub_u32 s30, 0, s28
	s_subb_u32 s31, 0, s29
	s_delay_alu instid0(VALU_DEP_1) | instskip(NEXT) | instid1(VALU_DEP_1)
	v_fmac_f32_e32 v3, 0x4f800000, v7
	v_rcp_f32_e32 v3, v3
	s_waitcnt_depctr 0xfff
	v_mul_f32_e32 v3, 0x5f7ffffc, v3
	s_delay_alu instid0(VALU_DEP_1) | instskip(NEXT) | instid1(VALU_DEP_1)
	v_mul_f32_e32 v7, 0x2f800000, v3
	v_trunc_f32_e32 v7, v7
	s_delay_alu instid0(VALU_DEP_1) | instskip(SKIP_1) | instid1(VALU_DEP_2)
	v_fmac_f32_e32 v3, 0xcf800000, v7
	v_cvt_u32_f32_e32 v7, v7
	v_cvt_u32_f32_e32 v3, v3
	s_delay_alu instid0(VALU_DEP_2) | instskip(NEXT) | instid1(VALU_DEP_2)
	v_readfirstlane_b32 s4, v7
	v_readfirstlane_b32 s21, v3
	s_delay_alu instid0(VALU_DEP_2) | instskip(NEXT) | instid1(VALU_DEP_1)
	s_mul_i32 s34, s30, s4
	s_mul_hi_u32 s50, s30, s21
	s_mul_i32 s35, s31, s21
	s_add_i32 s34, s50, s34
	s_mul_i32 s51, s30, s21
	s_add_i32 s34, s34, s35
	s_mul_hi_u32 s50, s21, s51
	s_mul_hi_u32 s52, s4, s51
	s_mul_i32 s35, s4, s51
	s_mul_hi_u32 s51, s21, s34
	s_mul_i32 s21, s21, s34
	s_mul_hi_u32 s53, s4, s34
	s_add_u32 s21, s50, s21
	s_addc_u32 s50, 0, s51
	s_add_u32 s21, s21, s35
	s_mul_i32 s34, s4, s34
	s_addc_u32 s21, s50, s52
	s_addc_u32 s35, s53, 0
	s_add_u32 s21, s21, s34
	s_addc_u32 s34, 0, s35
	v_add_co_u32 v3, s21, v3, s21
	s_delay_alu instid0(VALU_DEP_1) | instskip(SKIP_1) | instid1(VALU_DEP_1)
	s_cmp_lg_u32 s21, 0
	s_addc_u32 s4, s4, s34
	v_readfirstlane_b32 s21, v3
	s_mul_i32 s34, s30, s4
	s_delay_alu instid0(VALU_DEP_1)
	s_mul_hi_u32 s35, s30, s21
	s_mul_i32 s31, s31, s21
	s_add_i32 s34, s35, s34
	s_mul_i32 s30, s30, s21
	s_add_i32 s34, s34, s31
	s_mul_hi_u32 s35, s4, s30
	s_mul_i32 s50, s4, s30
	s_mul_hi_u32 s30, s21, s30
	s_mul_hi_u32 s51, s21, s34
	s_mul_i32 s21, s21, s34
	s_mul_hi_u32 s31, s4, s34
	s_add_u32 s21, s30, s21
	s_addc_u32 s30, 0, s51
	s_add_u32 s21, s21, s50
	s_mul_i32 s34, s4, s34
	s_addc_u32 s21, s30, s35
	s_addc_u32 s30, s31, 0
	s_add_u32 s21, s21, s34
	s_addc_u32 s30, 0, s30
	v_add_co_u32 v3, s21, v3, s21
	s_delay_alu instid0(VALU_DEP_1) | instskip(SKIP_2) | instid1(VALU_DEP_1)
	s_cmp_lg_u32 s21, 0
	s_addc_u32 s4, s4, s30
	s_ashr_i32 s30, s25, 31
	v_readfirstlane_b32 s21, v3
	s_add_u32 s34, s24, s30
	s_mov_b32 s31, s30
	s_addc_u32 s35, s25, s30
	s_delay_alu instid0(SALU_CYCLE_1) | instskip(NEXT) | instid1(SALU_CYCLE_1)
	s_xor_b64 s[34:35], s[34:35], s[30:31]
	s_mul_i32 s51, s34, s4
	s_mul_hi_u32 s52, s34, s21
	s_mul_hi_u32 s50, s34, s4
	;; [unrolled: 1-line block ×3, first 2 shown]
	s_mul_i32 s21, s35, s21
	s_add_u32 s51, s52, s51
	s_addc_u32 s50, 0, s50
	s_mul_hi_u32 s53, s35, s4
	s_add_u32 s21, s51, s21
	s_mul_i32 s4, s35, s4
	s_addc_u32 s21, s50, s54
	s_addc_u32 s50, s53, 0
	s_add_u32 s4, s21, s4
	s_addc_u32 s21, 0, s50
	s_mul_i32 s53, s28, s4
	s_mul_hi_u32 s50, s28, s4
	s_mul_i32 s52, s28, s21
	v_sub_co_u32 v3, s34, s34, s53
	s_mul_i32 s51, s29, s4
	s_add_i32 s50, s50, s52
	s_delay_alu instid0(SALU_CYCLE_1) | instskip(NEXT) | instid1(VALU_DEP_1)
	s_add_i32 s50, s50, s51
	v_sub_co_u32 v7, s52, v3, s28
	s_sub_i32 s51, s35, s50
	s_cmp_lg_u32 s34, 0
	s_subb_u32 s51, s51, s29
	s_cmp_lg_u32 s52, 0
	v_readfirstlane_b32 s52, v7
	s_subb_u32 s51, s51, 0
	s_delay_alu instid0(SALU_CYCLE_1) | instskip(SKIP_1) | instid1(VALU_DEP_1)
	s_cmp_ge_u32 s51, s29
	s_cselect_b32 s53, -1, 0
	s_cmp_ge_u32 s52, s28
	s_cselect_b32 s52, -1, 0
	s_cmp_eq_u32 s51, s29
	s_cselect_b32 s51, s52, s53
	s_add_u32 s52, s4, 1
	s_addc_u32 s53, s21, 0
	s_add_u32 s54, s4, 2
	s_addc_u32 s55, s21, 0
	s_cmp_lg_u32 s51, 0
	s_cselect_b32 s51, s54, s52
	s_cselect_b32 s52, s55, s53
	s_cmp_lg_u32 s34, 0
	v_readfirstlane_b32 s34, v3
	s_subb_u32 s35, s35, s50
	s_delay_alu instid0(SALU_CYCLE_1) | instskip(SKIP_1) | instid1(VALU_DEP_1)
	s_cmp_ge_u32 s35, s29
	s_cselect_b32 s50, -1, 0
	s_cmp_ge_u32 s34, s28
	s_cselect_b32 s28, -1, 0
	s_cmp_eq_u32 s35, s29
	s_cselect_b32 s28, s28, s50
	s_delay_alu instid0(SALU_CYCLE_1) | instskip(SKIP_3) | instid1(SALU_CYCLE_1)
	s_cmp_lg_u32 s28, 0
	s_cselect_b32 s29, s52, s21
	s_cselect_b32 s28, s51, s4
	s_xor_b64 s[26:27], s[30:31], s[26:27]
	s_xor_b64 s[28:29], s[28:29], s[26:27]
	s_delay_alu instid0(SALU_CYCLE_1)
	s_sub_u32 s26, s28, s26
	s_subb_u32 s27, s29, s27
	s_cbranch_execnz .LBB9_48
.LBB9_47:                               ;   in Loop: Header=BB9_42 Depth=3
	v_rcp_iflag_f32_e32 v3, v0
	s_sub_i32 s21, 0, s12
	s_waitcnt_depctr 0xfff
	v_mul_f32_e32 v3, 0x4f7ffffe, v3
	s_delay_alu instid0(VALU_DEP_1) | instskip(NEXT) | instid1(VALU_DEP_1)
	v_cvt_u32_f32_e32 v3, v3
	v_readfirstlane_b32 s4, v3
	s_delay_alu instid0(VALU_DEP_1) | instskip(NEXT) | instid1(SALU_CYCLE_1)
	s_mul_i32 s21, s21, s4
	s_mul_hi_u32 s21, s4, s21
	s_delay_alu instid0(SALU_CYCLE_1) | instskip(NEXT) | instid1(SALU_CYCLE_1)
	s_add_i32 s4, s4, s21
	s_mul_hi_u32 s4, s24, s4
	s_delay_alu instid0(SALU_CYCLE_1) | instskip(SKIP_2) | instid1(SALU_CYCLE_1)
	s_mul_i32 s21, s4, s12
	s_add_i32 s26, s4, 1
	s_sub_i32 s21, s24, s21
	s_sub_i32 s27, s21, s12
	s_cmp_ge_u32 s21, s12
	s_cselect_b32 s4, s26, s4
	s_cselect_b32 s21, s27, s21
	s_add_i32 s26, s4, 1
	s_cmp_ge_u32 s21, s12
	s_mov_b32 s27, s20
	s_cselect_b32 s26, s26, s4
.LBB9_48:                               ;   in Loop: Header=BB9_42 Depth=3
	s_delay_alu instid0(SALU_CYCLE_1) | instskip(SKIP_1) | instid1(SALU_CYCLE_1)
	s_mul_i32 s4, s26, s13
	s_mul_hi_u32 s21, s26, s12
	s_add_i32 s4, s21, s4
	s_mul_i32 s21, s27, s12
	s_mul_i32 s27, s26, s12
	s_add_i32 s4, s4, s21
	s_sub_u32 s21, s24, s27
	s_subb_u32 s4, s25, s4
	s_mul_i32 s27, s21, s11
	s_mul_hi_u32 s28, s21, s10
	s_mul_i32 s4, s4, s10
	s_add_i32 s25, s28, s27
	s_mul_i32 s28, s21, s10
	s_add_i32 s29, s25, s4
	s_delay_alu instid0(SALU_CYCLE_1) | instskip(NEXT) | instid1(SALU_CYCLE_1)
	s_or_b64 s[30:31], s[28:29], s[12:13]
	s_mov_b32 s21, s31
	s_delay_alu instid0(SALU_CYCLE_1)
	s_cmp_lg_u64 s[20:21], 0
	s_cbranch_scc0 .LBB9_83
; %bb.49:                               ;   in Loop: Header=BB9_42 Depth=3
	s_add_u32 s34, s12, s13
	s_mov_b32 s30, s13
	s_mov_b32 s31, s13
	s_addc_u32 s35, s13, s13
	s_delay_alu instid0(SALU_CYCLE_1) | instskip(NEXT) | instid1(SALU_CYCLE_1)
	s_xor_b64 s[34:35], s[34:35], s[30:31]
	v_cvt_f32_u32_e32 v3, s34
	v_cvt_f32_u32_e32 v7, s35
	s_sub_u32 s4, 0, s34
	s_subb_u32 s21, 0, s35
	s_ashr_i32 s50, s29, 31
	s_delay_alu instid0(VALU_DEP_1)
	v_fmac_f32_e32 v3, 0x4f800000, v7
	s_add_u32 s52, s28, s50
	s_mov_b32 s51, s50
	s_addc_u32 s53, s29, s50
	s_xor_b64 s[30:31], s[50:51], s[30:31]
	v_rcp_f32_e32 v3, v3
	s_xor_b64 s[52:53], s[52:53], s[50:51]
	s_waitcnt_depctr 0xfff
	v_mul_f32_e32 v3, 0x5f7ffffc, v3
	s_delay_alu instid0(VALU_DEP_1) | instskip(NEXT) | instid1(VALU_DEP_1)
	v_mul_f32_e32 v7, 0x2f800000, v3
	v_trunc_f32_e32 v7, v7
	s_delay_alu instid0(VALU_DEP_1) | instskip(SKIP_1) | instid1(VALU_DEP_2)
	v_fmac_f32_e32 v3, 0xcf800000, v7
	v_cvt_u32_f32_e32 v7, v7
	v_cvt_u32_f32_e32 v3, v3
	s_delay_alu instid0(VALU_DEP_2) | instskip(NEXT) | instid1(VALU_DEP_2)
	v_mul_lo_u32 v16, s4, v7
	v_mul_hi_u32 v17, s4, v3
	v_mul_lo_u32 v18, s21, v3
	s_delay_alu instid0(VALU_DEP_2) | instskip(SKIP_1) | instid1(VALU_DEP_2)
	v_add_nc_u32_e32 v16, v17, v16
	v_mul_lo_u32 v17, s4, v3
	v_add_nc_u32_e32 v16, v16, v18
	s_delay_alu instid0(VALU_DEP_2) | instskip(NEXT) | instid1(VALU_DEP_2)
	v_mul_hi_u32 v18, v3, v17
	v_mul_lo_u32 v19, v3, v16
	v_mul_hi_u32 v20, v3, v16
	v_mul_hi_u32 v21, v7, v17
	v_mul_lo_u32 v17, v7, v17
	v_mul_hi_u32 v22, v7, v16
	v_mul_lo_u32 v16, v7, v16
	v_add_co_u32 v18, vcc_lo, v18, v19
	v_add_co_ci_u32_e32 v19, vcc_lo, 0, v20, vcc_lo
	s_delay_alu instid0(VALU_DEP_2) | instskip(NEXT) | instid1(VALU_DEP_2)
	v_add_co_u32 v17, vcc_lo, v18, v17
	v_add_co_ci_u32_e32 v17, vcc_lo, v19, v21, vcc_lo
	v_add_co_ci_u32_e32 v18, vcc_lo, 0, v22, vcc_lo
	s_delay_alu instid0(VALU_DEP_2) | instskip(NEXT) | instid1(VALU_DEP_2)
	v_add_co_u32 v16, vcc_lo, v17, v16
	v_add_co_ci_u32_e32 v17, vcc_lo, 0, v18, vcc_lo
	s_delay_alu instid0(VALU_DEP_2) | instskip(NEXT) | instid1(VALU_DEP_2)
	v_add_co_u32 v3, vcc_lo, v3, v16
	v_add_co_ci_u32_e32 v7, vcc_lo, v7, v17, vcc_lo
	s_delay_alu instid0(VALU_DEP_2) | instskip(SKIP_1) | instid1(VALU_DEP_3)
	v_mul_hi_u32 v16, s4, v3
	v_mul_lo_u32 v18, s21, v3
	v_mul_lo_u32 v17, s4, v7
	s_delay_alu instid0(VALU_DEP_1) | instskip(SKIP_1) | instid1(VALU_DEP_2)
	v_add_nc_u32_e32 v16, v16, v17
	v_mul_lo_u32 v17, s4, v3
	v_add_nc_u32_e32 v16, v16, v18
	s_delay_alu instid0(VALU_DEP_2) | instskip(NEXT) | instid1(VALU_DEP_2)
	v_mul_hi_u32 v18, v3, v17
	v_mul_lo_u32 v19, v3, v16
	v_mul_hi_u32 v20, v3, v16
	v_mul_hi_u32 v21, v7, v17
	v_mul_lo_u32 v17, v7, v17
	v_mul_hi_u32 v22, v7, v16
	v_mul_lo_u32 v16, v7, v16
	v_add_co_u32 v18, vcc_lo, v18, v19
	v_add_co_ci_u32_e32 v19, vcc_lo, 0, v20, vcc_lo
	s_delay_alu instid0(VALU_DEP_2) | instskip(NEXT) | instid1(VALU_DEP_2)
	v_add_co_u32 v17, vcc_lo, v18, v17
	v_add_co_ci_u32_e32 v17, vcc_lo, v19, v21, vcc_lo
	v_add_co_ci_u32_e32 v18, vcc_lo, 0, v22, vcc_lo
	s_delay_alu instid0(VALU_DEP_2) | instskip(NEXT) | instid1(VALU_DEP_2)
	v_add_co_u32 v16, vcc_lo, v17, v16
	v_add_co_ci_u32_e32 v17, vcc_lo, 0, v18, vcc_lo
	s_delay_alu instid0(VALU_DEP_2) | instskip(NEXT) | instid1(VALU_DEP_2)
	v_add_co_u32 v3, vcc_lo, v3, v16
	v_add_co_ci_u32_e32 v7, vcc_lo, v7, v17, vcc_lo
	s_delay_alu instid0(VALU_DEP_2) | instskip(SKIP_1) | instid1(VALU_DEP_3)
	v_mul_hi_u32 v16, s52, v3
	v_mul_hi_u32 v19, s53, v3
	v_mul_lo_u32 v17, s52, v7
	v_mul_hi_u32 v18, s52, v7
	v_mul_lo_u32 v3, s53, v3
	;; [unrolled: 2-line block ×3, first 2 shown]
	v_add_co_u32 v16, vcc_lo, v16, v17
	v_add_co_ci_u32_e32 v17, vcc_lo, 0, v18, vcc_lo
	s_delay_alu instid0(VALU_DEP_2) | instskip(NEXT) | instid1(VALU_DEP_2)
	v_add_co_u32 v3, vcc_lo, v16, v3
	v_add_co_ci_u32_e32 v3, vcc_lo, v17, v19, vcc_lo
	v_add_co_ci_u32_e32 v16, vcc_lo, 0, v20, vcc_lo
	s_delay_alu instid0(VALU_DEP_2) | instskip(NEXT) | instid1(VALU_DEP_2)
	v_add_co_u32 v3, vcc_lo, v3, v7
	v_add_co_ci_u32_e32 v7, vcc_lo, 0, v16, vcc_lo
	s_delay_alu instid0(VALU_DEP_2) | instskip(SKIP_1) | instid1(VALU_DEP_3)
	v_mul_hi_u32 v16, s34, v3
	v_mul_lo_u32 v17, s35, v3
	v_mul_lo_u32 v7, s34, v7
	v_add_co_u32 v18, s4, v3, 1
	s_delay_alu instid0(VALU_DEP_2) | instskip(SKIP_1) | instid1(VALU_DEP_2)
	v_add_nc_u32_e32 v7, v16, v7
	v_mul_lo_u32 v16, s34, v3
	v_add_nc_u32_e32 v7, v7, v17
	s_delay_alu instid0(VALU_DEP_2) | instskip(NEXT) | instid1(VALU_DEP_2)
	v_sub_co_u32 v16, vcc_lo, s52, v16
	v_sub_nc_u32_e32 v17, s53, v7
	s_delay_alu instid0(VALU_DEP_1) | instskip(NEXT) | instid1(VALU_DEP_3)
	v_subrev_co_ci_u32_e64 v17, s4, s35, v17, vcc_lo
	v_sub_co_u32 v19, s4, v16, s34
	v_sub_co_ci_u32_e32 v7, vcc_lo, s53, v7, vcc_lo
	s_delay_alu instid0(VALU_DEP_3) | instskip(NEXT) | instid1(VALU_DEP_3)
	v_subrev_co_ci_u32_e64 v17, s4, 0, v17, s4
	v_cmp_le_u32_e32 vcc_lo, s34, v19
	v_cndmask_b32_e64 v19, 0, -1, vcc_lo
	s_delay_alu instid0(VALU_DEP_3)
	v_cmp_le_u32_e32 vcc_lo, s35, v17
	v_cndmask_b32_e64 v20, 0, -1, vcc_lo
	v_cmp_le_u32_e32 vcc_lo, s34, v16
	v_cndmask_b32_e64 v16, 0, -1, vcc_lo
	;; [unrolled: 2-line block ×3, first 2 shown]
	v_cmp_eq_u32_e32 vcc_lo, s35, v17
	v_cndmask_b32_e32 v17, v20, v19, vcc_lo
	v_add_co_u32 v19, vcc_lo, v3, 2
	v_cmp_eq_u32_e32 vcc_lo, s35, v7
	v_cndmask_b32_e32 v7, v21, v16, vcc_lo
	s_delay_alu instid0(VALU_DEP_4) | instskip(NEXT) | instid1(VALU_DEP_4)
	v_cmp_ne_u32_e32 vcc_lo, 0, v17
	v_cndmask_b32_e32 v16, v18, v19, vcc_lo
	s_delay_alu instid0(VALU_DEP_3) | instskip(NEXT) | instid1(VALU_DEP_2)
	v_cmp_ne_u32_e32 vcc_lo, 0, v7
	v_cndmask_b32_e32 v3, v3, v16, vcc_lo
	s_delay_alu instid0(VALU_DEP_1) | instskip(NEXT) | instid1(VALU_DEP_1)
	v_xor_b32_e32 v3, s30, v3
	v_sub_co_u32 v16, vcc_lo, v3, s30
	s_cbranch_execnz .LBB9_51
.LBB9_50:                               ;   in Loop: Header=BB9_42 Depth=3
	v_rcp_iflag_f32_e32 v0, v0
	s_sub_i32 s4, 0, s12
	s_waitcnt_depctr 0xfff
	v_mul_f32_e32 v0, 0x4f7ffffe, v0
	s_delay_alu instid0(VALU_DEP_1) | instskip(NEXT) | instid1(VALU_DEP_1)
	v_cvt_u32_f32_e32 v0, v0
	v_mul_lo_u32 v3, s4, v0
	s_delay_alu instid0(VALU_DEP_1) | instskip(NEXT) | instid1(VALU_DEP_1)
	v_mul_hi_u32 v3, v0, v3
	v_add_nc_u32_e32 v0, v0, v3
	s_delay_alu instid0(VALU_DEP_1) | instskip(NEXT) | instid1(VALU_DEP_1)
	v_mul_hi_u32 v0, s28, v0
	v_mul_lo_u32 v3, v0, s12
	v_add_nc_u32_e32 v7, 1, v0
	s_delay_alu instid0(VALU_DEP_2) | instskip(NEXT) | instid1(VALU_DEP_1)
	v_sub_nc_u32_e32 v3, s28, v3
	v_subrev_nc_u32_e32 v16, s12, v3
	v_cmp_le_u32_e32 vcc_lo, s12, v3
	s_delay_alu instid0(VALU_DEP_2) | instskip(NEXT) | instid1(VALU_DEP_1)
	v_dual_cndmask_b32 v3, v3, v16 :: v_dual_cndmask_b32 v0, v0, v7
	v_cmp_le_u32_e32 vcc_lo, s12, v3
	s_delay_alu instid0(VALU_DEP_2) | instskip(NEXT) | instid1(VALU_DEP_1)
	v_add_nc_u32_e32 v7, 1, v0
	v_cndmask_b32_e32 v16, v0, v7, vcc_lo
.LBB9_51:                               ;   in Loop: Header=BB9_42 Depth=3
	s_and_saveexec_b32 s21, s2
	s_cbranch_execz .LBB9_41
; %bb.52:                               ;   in Loop: Header=BB9_42 Depth=3
	s_mul_i32 s4, s26, s10
	s_mov_b32 s25, 0
	v_dual_mov_b32 v7, v4 :: v_dual_add_nc_u32 v0, s4, v16
	s_delay_alu instid0(VALU_DEP_1) | instskip(NEXT) | instid1(VALU_DEP_1)
	v_sub_nc_u32_e32 v0, v15, v0
	v_dual_mov_b32 v15, v12 :: v_dual_add_nc_u32 v0, 1, v0
	s_branch .LBB9_54
.LBB9_53:                               ;   in Loop: Header=BB9_54 Depth=4
	s_or_b32 exec_lo, exec_lo, s30
	v_add_nc_u32_e32 v7, 1, v7
	v_add_nc_u32_e32 v15, s9, v15
	s_delay_alu instid0(VALU_DEP_2) | instskip(SKIP_1) | instid1(SALU_CYCLE_1)
	v_cmp_ge_i32_e32 vcc_lo, v7, v33
	s_or_b32 s25, vcc_lo, s25
	s_and_not1_b32 exec_lo, exec_lo, s25
	s_cbranch_execz .LBB9_41
.LBB9_54:                               ;   Parent Loop BB9_12 Depth=1
                                        ;     Parent Loop BB9_27 Depth=2
                                        ;       Parent Loop BB9_42 Depth=3
                                        ; =>      This Loop Header: Depth=4
                                        ;           Child Loop BB9_69 Depth 5
	s_and_saveexec_b32 s30, s3
	s_cbranch_execz .LBB9_53
; %bb.55:                               ;   in Loop: Header=BB9_54 Depth=4
	v_ashrrev_i32_e32 v16, 31, v7
	v_add_co_u32 v3, vcc_lo, v7, 1
	s_mov_b32 s4, exec_lo
	s_delay_alu instid0(VALU_DEP_2) | instskip(NEXT) | instid1(VALU_DEP_2)
	v_add_co_ci_u32_e32 v17, vcc_lo, 0, v16, vcc_lo
	v_mul_lo_u32 v18, v3, s17
	v_mad_u64_u32 v[19:20], null, v3, s37, -1
	s_delay_alu instid0(VALU_DEP_3) | instskip(NEXT) | instid1(VALU_DEP_1)
	v_mul_lo_u32 v17, v17, s37
	v_add3_u32 v20, v17, v20, v18
                                        ; implicit-def: $vgpr17_vgpr18
	s_delay_alu instid0(VALU_DEP_1) | instskip(NEXT) | instid1(VALU_DEP_1)
	v_or_b32_e32 v3, s45, v20
	v_cmpx_ne_u64_e32 0, v[2:3]
	s_xor_b32 s31, exec_lo, s4
	s_cbranch_execz .LBB9_57
; %bb.56:                               ;   in Loop: Header=BB9_54 Depth=4
	s_add_u32 s28, s41, s45
	s_mov_b32 s26, s45
	s_mov_b32 s27, s45
	s_addc_u32 s29, s45, s45
	s_delay_alu instid0(SALU_CYCLE_1) | instskip(NEXT) | instid1(SALU_CYCLE_1)
	s_xor_b64 s[28:29], s[28:29], s[26:27]
	v_cvt_f32_u32_e32 v3, s28
	v_cvt_f32_u32_e32 v17, s29
	s_sub_u32 s4, 0, s28
	s_subb_u32 s27, 0, s29
	s_delay_alu instid0(VALU_DEP_1) | instskip(NEXT) | instid1(VALU_DEP_1)
	v_fmac_f32_e32 v3, 0x4f800000, v17
	v_rcp_f32_e32 v3, v3
	s_waitcnt_depctr 0xfff
	v_mul_f32_e32 v3, 0x5f7ffffc, v3
	s_delay_alu instid0(VALU_DEP_1) | instskip(NEXT) | instid1(VALU_DEP_1)
	v_mul_f32_e32 v17, 0x2f800000, v3
	v_trunc_f32_e32 v17, v17
	s_delay_alu instid0(VALU_DEP_1) | instskip(SKIP_1) | instid1(VALU_DEP_2)
	v_fmac_f32_e32 v3, 0xcf800000, v17
	v_cvt_u32_f32_e32 v17, v17
	v_cvt_u32_f32_e32 v3, v3
	s_delay_alu instid0(VALU_DEP_2) | instskip(NEXT) | instid1(VALU_DEP_2)
	v_mul_lo_u32 v18, s4, v17
	v_mul_hi_u32 v21, s4, v3
	v_mul_lo_u32 v22, s27, v3
	s_delay_alu instid0(VALU_DEP_2) | instskip(SKIP_1) | instid1(VALU_DEP_2)
	v_add_nc_u32_e32 v18, v21, v18
	v_mul_lo_u32 v21, s4, v3
	v_add_nc_u32_e32 v18, v18, v22
	s_delay_alu instid0(VALU_DEP_2) | instskip(NEXT) | instid1(VALU_DEP_2)
	v_mul_hi_u32 v22, v3, v21
	v_mul_lo_u32 v23, v3, v18
	v_mul_hi_u32 v24, v3, v18
	v_mul_hi_u32 v25, v17, v21
	v_mul_lo_u32 v21, v17, v21
	v_mul_hi_u32 v26, v17, v18
	v_mul_lo_u32 v18, v17, v18
	v_add_co_u32 v22, vcc_lo, v22, v23
	v_add_co_ci_u32_e32 v23, vcc_lo, 0, v24, vcc_lo
	s_delay_alu instid0(VALU_DEP_2) | instskip(NEXT) | instid1(VALU_DEP_2)
	v_add_co_u32 v21, vcc_lo, v22, v21
	v_add_co_ci_u32_e32 v21, vcc_lo, v23, v25, vcc_lo
	v_add_co_ci_u32_e32 v22, vcc_lo, 0, v26, vcc_lo
	v_ashrrev_i32_e32 v25, 31, v20
	s_delay_alu instid0(VALU_DEP_3) | instskip(NEXT) | instid1(VALU_DEP_3)
	v_add_co_u32 v18, vcc_lo, v21, v18
	v_add_co_ci_u32_e32 v21, vcc_lo, 0, v22, vcc_lo
	s_delay_alu instid0(VALU_DEP_2) | instskip(NEXT) | instid1(VALU_DEP_2)
	v_add_co_u32 v3, vcc_lo, v3, v18
	v_add_co_ci_u32_e32 v17, vcc_lo, v17, v21, vcc_lo
	s_delay_alu instid0(VALU_DEP_2) | instskip(SKIP_1) | instid1(VALU_DEP_3)
	v_mul_hi_u32 v18, s4, v3
	v_mul_lo_u32 v22, s27, v3
	v_mul_lo_u32 v21, s4, v17
	s_delay_alu instid0(VALU_DEP_1) | instskip(SKIP_1) | instid1(VALU_DEP_2)
	v_add_nc_u32_e32 v18, v18, v21
	v_mul_lo_u32 v21, s4, v3
	v_add_nc_u32_e32 v18, v18, v22
	s_delay_alu instid0(VALU_DEP_2) | instskip(NEXT) | instid1(VALU_DEP_2)
	v_mul_hi_u32 v22, v3, v21
	v_mul_lo_u32 v23, v3, v18
	v_mul_hi_u32 v24, v3, v18
	v_mul_hi_u32 v26, v17, v21
	v_mul_lo_u32 v21, v17, v21
	v_mul_hi_u32 v27, v17, v18
	v_mul_lo_u32 v18, v17, v18
	v_add_co_u32 v22, vcc_lo, v22, v23
	v_add_co_ci_u32_e32 v23, vcc_lo, 0, v24, vcc_lo
	s_delay_alu instid0(VALU_DEP_2) | instskip(NEXT) | instid1(VALU_DEP_2)
	v_add_co_u32 v21, vcc_lo, v22, v21
	v_add_co_ci_u32_e32 v21, vcc_lo, v23, v26, vcc_lo
	v_add_co_ci_u32_e32 v22, vcc_lo, 0, v27, vcc_lo
	v_add_co_u32 v19, vcc_lo, v19, v25
	v_add_co_ci_u32_e32 v20, vcc_lo, v20, v25, vcc_lo
	s_delay_alu instid0(VALU_DEP_4) | instskip(NEXT) | instid1(VALU_DEP_4)
	v_add_co_u32 v18, vcc_lo, v21, v18
	v_add_co_ci_u32_e32 v21, vcc_lo, 0, v22, vcc_lo
	s_delay_alu instid0(VALU_DEP_4) | instskip(NEXT) | instid1(VALU_DEP_3)
	v_xor_b32_e32 v23, v19, v25
	v_add_co_u32 v3, vcc_lo, v3, v18
	s_delay_alu instid0(VALU_DEP_3) | instskip(SKIP_1) | instid1(VALU_DEP_3)
	v_add_co_ci_u32_e32 v24, vcc_lo, v17, v21, vcc_lo
	v_xor_b32_e32 v26, v20, v25
	v_mul_hi_u32 v27, v23, v3
	s_delay_alu instid0(VALU_DEP_3) | instskip(NEXT) | instid1(VALU_DEP_3)
	v_mad_u64_u32 v[17:18], null, v23, v24, 0
	v_mad_u64_u32 v[19:20], null, v26, v3, 0
	v_mad_u64_u32 v[21:22], null, v26, v24, 0
	s_delay_alu instid0(VALU_DEP_3) | instskip(NEXT) | instid1(VALU_DEP_4)
	v_add_co_u32 v3, vcc_lo, v27, v17
	v_add_co_ci_u32_e32 v17, vcc_lo, 0, v18, vcc_lo
	s_delay_alu instid0(VALU_DEP_2) | instskip(NEXT) | instid1(VALU_DEP_2)
	v_add_co_u32 v3, vcc_lo, v3, v19
	v_add_co_ci_u32_e32 v3, vcc_lo, v17, v20, vcc_lo
	v_add_co_ci_u32_e32 v17, vcc_lo, 0, v22, vcc_lo
	s_delay_alu instid0(VALU_DEP_2) | instskip(NEXT) | instid1(VALU_DEP_2)
	v_add_co_u32 v3, vcc_lo, v3, v21
	v_add_co_ci_u32_e32 v19, vcc_lo, 0, v17, vcc_lo
	s_delay_alu instid0(VALU_DEP_2) | instskip(SKIP_1) | instid1(VALU_DEP_3)
	v_mul_lo_u32 v20, s29, v3
	v_mad_u64_u32 v[17:18], null, s28, v3, 0
	v_mul_lo_u32 v19, s28, v19
	s_delay_alu instid0(VALU_DEP_2) | instskip(NEXT) | instid1(VALU_DEP_2)
	v_sub_co_u32 v17, vcc_lo, v23, v17
	v_add3_u32 v18, v18, v19, v20
	v_add_co_u32 v20, s4, v3, 2
	s_delay_alu instid0(VALU_DEP_2) | instskip(NEXT) | instid1(VALU_DEP_1)
	v_sub_nc_u32_e32 v19, v26, v18
	v_subrev_co_ci_u32_e64 v19, s4, s29, v19, vcc_lo
	v_sub_co_u32 v21, s4, v17, s28
	v_sub_co_ci_u32_e32 v18, vcc_lo, v26, v18, vcc_lo
	s_delay_alu instid0(VALU_DEP_3) | instskip(NEXT) | instid1(VALU_DEP_3)
	v_subrev_co_ci_u32_e64 v19, s4, 0, v19, s4
	v_cmp_le_u32_e32 vcc_lo, s28, v21
	v_cndmask_b32_e64 v21, 0, -1, vcc_lo
	s_delay_alu instid0(VALU_DEP_3)
	v_cmp_le_u32_e32 vcc_lo, s29, v19
	v_cndmask_b32_e64 v22, 0, -1, vcc_lo
	v_cmp_le_u32_e32 vcc_lo, s28, v17
	v_cndmask_b32_e64 v17, 0, -1, vcc_lo
	;; [unrolled: 2-line block ×3, first 2 shown]
	v_cmp_eq_u32_e32 vcc_lo, s29, v19
	v_cndmask_b32_e32 v19, v22, v21, vcc_lo
	v_add_co_u32 v21, vcc_lo, v3, 1
	v_cmp_eq_u32_e32 vcc_lo, s29, v18
	v_cndmask_b32_e32 v17, v23, v17, vcc_lo
	s_delay_alu instid0(VALU_DEP_4) | instskip(NEXT) | instid1(VALU_DEP_4)
	v_cmp_ne_u32_e32 vcc_lo, 0, v19
	v_cndmask_b32_e32 v18, v21, v20, vcc_lo
	s_delay_alu instid0(VALU_DEP_3) | instskip(SKIP_1) | instid1(VALU_DEP_3)
	v_cmp_ne_u32_e32 vcc_lo, 0, v17
	v_xor_b32_e32 v17, s26, v25
                                        ; implicit-def: $vgpr19_vgpr20
	v_cndmask_b32_e32 v3, v3, v18, vcc_lo
	s_delay_alu instid0(VALU_DEP_1) | instskip(NEXT) | instid1(VALU_DEP_1)
	v_xor_b32_e32 v3, v3, v17
	v_sub_co_u32 v17, vcc_lo, v3, v17
.LBB9_57:                               ;   in Loop: Header=BB9_54 Depth=4
	s_or_saveexec_b32 s4, s31
	v_cvt_f32_u32_e32 v3, s41
	s_delay_alu instid0(VALU_DEP_1)
	v_rcp_iflag_f32_e32 v23, v3
	s_xor_b32 exec_lo, exec_lo, s4
	s_cbranch_execz .LBB9_59
; %bb.58:                               ;   in Loop: Header=BB9_54 Depth=4
	s_waitcnt_depctr 0xfff
	v_mul_f32_e32 v3, 0x4f7ffffe, v23
	s_sub_i32 s26, 0, s41
	s_delay_alu instid0(VALU_DEP_1) | instskip(NEXT) | instid1(VALU_DEP_1)
	v_cvt_u32_f32_e32 v3, v3
	v_mul_lo_u32 v17, s26, v3
	s_delay_alu instid0(VALU_DEP_1) | instskip(NEXT) | instid1(VALU_DEP_1)
	v_mul_hi_u32 v17, v3, v17
	v_add_nc_u32_e32 v3, v3, v17
	s_delay_alu instid0(VALU_DEP_1) | instskip(NEXT) | instid1(VALU_DEP_1)
	v_mul_hi_u32 v3, v19, v3
	v_mul_lo_u32 v17, v3, s41
	v_add_nc_u32_e32 v18, 1, v3
	s_delay_alu instid0(VALU_DEP_2) | instskip(NEXT) | instid1(VALU_DEP_1)
	v_sub_nc_u32_e32 v17, v19, v17
	v_subrev_nc_u32_e32 v19, s41, v17
	v_cmp_le_u32_e32 vcc_lo, s41, v17
	s_delay_alu instid0(VALU_DEP_2) | instskip(SKIP_1) | instid1(VALU_DEP_2)
	v_cndmask_b32_e32 v17, v17, v19, vcc_lo
	v_cndmask_b32_e32 v3, v3, v18, vcc_lo
	v_cmp_le_u32_e32 vcc_lo, s41, v17
	s_delay_alu instid0(VALU_DEP_2) | instskip(NEXT) | instid1(VALU_DEP_1)
	v_add_nc_u32_e32 v18, 1, v3
	v_cndmask_b32_e32 v17, v3, v18, vcc_lo
.LBB9_59:                               ;   in Loop: Header=BB9_54 Depth=4
	s_or_b32 exec_lo, exec_lo, s4
	v_or_b32_e32 v3, s45, v16
                                        ; implicit-def: $vgpr18_vgpr19
	s_mov_b32 s4, exec_lo
	s_delay_alu instid0(VALU_DEP_1)
	v_cmpx_ne_u64_e32 0, v[2:3]
	s_xor_b32 s31, exec_lo, s4
	s_cbranch_execz .LBB9_61
; %bb.60:                               ;   in Loop: Header=BB9_54 Depth=4
	s_add_u32 s28, s41, s45
	s_mov_b32 s26, s45
	s_mov_b32 s27, s45
	s_addc_u32 s29, s45, s45
	s_delay_alu instid0(SALU_CYCLE_1) | instskip(NEXT) | instid1(SALU_CYCLE_1)
	s_xor_b64 s[28:29], s[28:29], s[26:27]
	v_cvt_f32_u32_e32 v3, s28
	v_cvt_f32_u32_e32 v18, s29
	s_sub_u32 s4, 0, s28
	s_subb_u32 s34, 0, s29
	s_delay_alu instid0(VALU_DEP_1) | instskip(NEXT) | instid1(VALU_DEP_1)
	v_fmac_f32_e32 v3, 0x4f800000, v18
	v_rcp_f32_e32 v3, v3
	s_waitcnt_depctr 0xfff
	v_mul_f32_e32 v3, 0x5f7ffffc, v3
	s_delay_alu instid0(VALU_DEP_1) | instskip(NEXT) | instid1(VALU_DEP_1)
	v_mul_f32_e32 v18, 0x2f800000, v3
	v_trunc_f32_e32 v18, v18
	s_delay_alu instid0(VALU_DEP_1) | instskip(SKIP_1) | instid1(VALU_DEP_2)
	v_fmac_f32_e32 v3, 0xcf800000, v18
	v_cvt_u32_f32_e32 v18, v18
	v_cvt_u32_f32_e32 v3, v3
	s_delay_alu instid0(VALU_DEP_2) | instskip(NEXT) | instid1(VALU_DEP_2)
	v_mul_lo_u32 v19, s4, v18
	v_mul_hi_u32 v20, s4, v3
	v_mul_lo_u32 v21, s34, v3
	s_delay_alu instid0(VALU_DEP_2) | instskip(SKIP_1) | instid1(VALU_DEP_2)
	v_add_nc_u32_e32 v19, v20, v19
	v_mul_lo_u32 v20, s4, v3
	v_add_nc_u32_e32 v19, v19, v21
	s_delay_alu instid0(VALU_DEP_2) | instskip(NEXT) | instid1(VALU_DEP_2)
	v_mul_hi_u32 v21, v3, v20
	v_mul_lo_u32 v22, v3, v19
	v_mul_hi_u32 v24, v3, v19
	v_mul_hi_u32 v25, v18, v20
	v_mul_lo_u32 v20, v18, v20
	v_mul_hi_u32 v26, v18, v19
	v_mul_lo_u32 v19, v18, v19
	v_add_co_u32 v21, vcc_lo, v21, v22
	v_add_co_ci_u32_e32 v22, vcc_lo, 0, v24, vcc_lo
	s_delay_alu instid0(VALU_DEP_2) | instskip(NEXT) | instid1(VALU_DEP_2)
	v_add_co_u32 v20, vcc_lo, v21, v20
	v_add_co_ci_u32_e32 v20, vcc_lo, v22, v25, vcc_lo
	v_add_co_ci_u32_e32 v21, vcc_lo, 0, v26, vcc_lo
	v_ashrrev_i32_e32 v26, 31, v16
	s_delay_alu instid0(VALU_DEP_3) | instskip(NEXT) | instid1(VALU_DEP_3)
	v_add_co_u32 v19, vcc_lo, v20, v19
	v_add_co_ci_u32_e32 v20, vcc_lo, 0, v21, vcc_lo
	s_delay_alu instid0(VALU_DEP_2) | instskip(NEXT) | instid1(VALU_DEP_2)
	v_add_co_u32 v3, vcc_lo, v3, v19
	v_add_co_ci_u32_e32 v18, vcc_lo, v18, v20, vcc_lo
	s_delay_alu instid0(VALU_DEP_2) | instskip(SKIP_1) | instid1(VALU_DEP_3)
	v_mul_hi_u32 v19, s4, v3
	v_mul_lo_u32 v21, s34, v3
	v_mul_lo_u32 v20, s4, v18
	s_delay_alu instid0(VALU_DEP_1) | instskip(SKIP_1) | instid1(VALU_DEP_2)
	v_add_nc_u32_e32 v19, v19, v20
	v_mul_lo_u32 v20, s4, v3
	v_add_nc_u32_e32 v19, v19, v21
	s_delay_alu instid0(VALU_DEP_2) | instskip(NEXT) | instid1(VALU_DEP_2)
	v_mul_hi_u32 v21, v3, v20
	v_mul_lo_u32 v22, v3, v19
	v_mul_hi_u32 v24, v3, v19
	v_mul_hi_u32 v25, v18, v20
	v_mul_lo_u32 v20, v18, v20
	v_mul_hi_u32 v27, v18, v19
	v_mul_lo_u32 v19, v18, v19
	v_add_co_u32 v21, vcc_lo, v21, v22
	v_add_co_ci_u32_e32 v22, vcc_lo, 0, v24, vcc_lo
	s_delay_alu instid0(VALU_DEP_2) | instskip(NEXT) | instid1(VALU_DEP_2)
	v_add_co_u32 v20, vcc_lo, v21, v20
	v_add_co_ci_u32_e32 v20, vcc_lo, v22, v25, vcc_lo
	v_add_co_ci_u32_e32 v21, vcc_lo, 0, v27, vcc_lo
	v_add_co_u32 v22, vcc_lo, v7, v26
	v_add_co_ci_u32_e32 v24, vcc_lo, v16, v26, vcc_lo
	s_delay_alu instid0(VALU_DEP_4) | instskip(NEXT) | instid1(VALU_DEP_4)
	v_add_co_u32 v19, vcc_lo, v20, v19
	v_add_co_ci_u32_e32 v20, vcc_lo, 0, v21, vcc_lo
	s_delay_alu instid0(VALU_DEP_4) | instskip(NEXT) | instid1(VALU_DEP_3)
	v_xor_b32_e32 v22, v22, v26
	v_add_co_u32 v3, vcc_lo, v3, v19
	s_delay_alu instid0(VALU_DEP_3) | instskip(SKIP_1) | instid1(VALU_DEP_3)
	v_add_co_ci_u32_e32 v27, vcc_lo, v18, v20, vcc_lo
	v_xor_b32_e32 v28, v24, v26
	v_mul_hi_u32 v37, v22, v3
	s_delay_alu instid0(VALU_DEP_3) | instskip(NEXT) | instid1(VALU_DEP_3)
	v_mad_u64_u32 v[18:19], null, v22, v27, 0
	v_mad_u64_u32 v[20:21], null, v28, v3, 0
	;; [unrolled: 1-line block ×3, first 2 shown]
	s_delay_alu instid0(VALU_DEP_3) | instskip(NEXT) | instid1(VALU_DEP_4)
	v_add_co_u32 v3, vcc_lo, v37, v18
	v_add_co_ci_u32_e32 v18, vcc_lo, 0, v19, vcc_lo
	s_delay_alu instid0(VALU_DEP_2) | instskip(NEXT) | instid1(VALU_DEP_2)
	v_add_co_u32 v3, vcc_lo, v3, v20
	v_add_co_ci_u32_e32 v3, vcc_lo, v18, v21, vcc_lo
	v_add_co_ci_u32_e32 v18, vcc_lo, 0, v25, vcc_lo
	s_delay_alu instid0(VALU_DEP_2) | instskip(NEXT) | instid1(VALU_DEP_2)
	v_add_co_u32 v3, vcc_lo, v3, v24
	v_add_co_ci_u32_e32 v20, vcc_lo, 0, v18, vcc_lo
	s_delay_alu instid0(VALU_DEP_2) | instskip(SKIP_1) | instid1(VALU_DEP_3)
	v_mul_lo_u32 v21, s29, v3
	v_mad_u64_u32 v[18:19], null, s28, v3, 0
	v_mul_lo_u32 v24, s28, v20
	s_delay_alu instid0(VALU_DEP_2) | instskip(NEXT) | instid1(VALU_DEP_2)
	v_sub_co_u32 v18, vcc_lo, v22, v18
	v_add3_u32 v19, v19, v24, v21
	s_delay_alu instid0(VALU_DEP_1) | instskip(NEXT) | instid1(VALU_DEP_1)
	v_sub_nc_u32_e32 v21, v28, v19
	v_subrev_co_ci_u32_e64 v21, s4, s29, v21, vcc_lo
	v_add_co_u32 v22, s4, v3, 2
	s_delay_alu instid0(VALU_DEP_1) | instskip(SKIP_3) | instid1(VALU_DEP_3)
	v_add_co_ci_u32_e64 v24, s4, 0, v20, s4
	v_sub_co_u32 v25, s4, v18, s28
	v_sub_co_ci_u32_e32 v19, vcc_lo, v28, v19, vcc_lo
	v_subrev_co_ci_u32_e64 v21, s4, 0, v21, s4
	v_cmp_le_u32_e32 vcc_lo, s28, v25
	s_delay_alu instid0(VALU_DEP_3) | instskip(SKIP_1) | instid1(VALU_DEP_4)
	v_cmp_eq_u32_e64 s4, s29, v19
	v_cndmask_b32_e64 v25, 0, -1, vcc_lo
	v_cmp_le_u32_e32 vcc_lo, s29, v21
	v_cndmask_b32_e64 v27, 0, -1, vcc_lo
	v_cmp_le_u32_e32 vcc_lo, s28, v18
	;; [unrolled: 2-line block ×3, first 2 shown]
	v_cndmask_b32_e64 v28, 0, -1, vcc_lo
	v_cmp_eq_u32_e32 vcc_lo, s29, v21
	s_delay_alu instid0(VALU_DEP_2) | instskip(SKIP_3) | instid1(VALU_DEP_3)
	v_cndmask_b32_e64 v18, v28, v18, s4
	v_cndmask_b32_e32 v21, v27, v25, vcc_lo
	v_add_co_u32 v25, vcc_lo, v3, 1
	v_add_co_ci_u32_e32 v27, vcc_lo, 0, v20, vcc_lo
	v_cmp_ne_u32_e32 vcc_lo, 0, v21
	s_delay_alu instid0(VALU_DEP_2) | instskip(NEXT) | instid1(VALU_DEP_4)
	v_cndmask_b32_e32 v19, v27, v24, vcc_lo
	v_cndmask_b32_e32 v21, v25, v22, vcc_lo
	v_cmp_ne_u32_e32 vcc_lo, 0, v18
	v_xor_b32_e32 v18, s26, v26
	s_delay_alu instid0(VALU_DEP_3) | instskip(SKIP_2) | instid1(VALU_DEP_3)
	v_cndmask_b32_e32 v3, v3, v21, vcc_lo
	v_cndmask_b32_e32 v19, v20, v19, vcc_lo
	v_xor_b32_e32 v20, s27, v26
	v_xor_b32_e32 v3, v3, v18
	s_delay_alu instid0(VALU_DEP_2) | instskip(NEXT) | instid1(VALU_DEP_2)
	v_xor_b32_e32 v19, v19, v20
	v_sub_co_u32 v18, vcc_lo, v3, v18
	s_delay_alu instid0(VALU_DEP_2)
	v_sub_co_ci_u32_e32 v19, vcc_lo, v19, v20, vcc_lo
.LBB9_61:                               ;   in Loop: Header=BB9_54 Depth=4
	s_and_not1_saveexec_b32 s4, s31
	s_cbranch_execz .LBB9_63
; %bb.62:                               ;   in Loop: Header=BB9_54 Depth=4
	s_waitcnt_depctr 0xfff
	v_mul_f32_e32 v3, 0x4f7ffffe, v23
	s_sub_i32 s26, 0, s41
	s_delay_alu instid0(VALU_DEP_1) | instskip(NEXT) | instid1(VALU_DEP_1)
	v_cvt_u32_f32_e32 v3, v3
	v_mul_lo_u32 v18, s26, v3
	s_delay_alu instid0(VALU_DEP_1) | instskip(NEXT) | instid1(VALU_DEP_1)
	v_mul_hi_u32 v18, v3, v18
	v_add_nc_u32_e32 v3, v3, v18
	s_delay_alu instid0(VALU_DEP_1) | instskip(NEXT) | instid1(VALU_DEP_1)
	v_mul_hi_u32 v3, v7, v3
	v_mul_lo_u32 v18, v3, s41
	v_add_nc_u32_e32 v19, 1, v3
	s_delay_alu instid0(VALU_DEP_2) | instskip(NEXT) | instid1(VALU_DEP_1)
	v_sub_nc_u32_e32 v18, v7, v18
	v_subrev_nc_u32_e32 v20, s41, v18
	v_cmp_le_u32_e32 vcc_lo, s41, v18
	s_delay_alu instid0(VALU_DEP_2) | instskip(NEXT) | instid1(VALU_DEP_1)
	v_dual_cndmask_b32 v18, v18, v20 :: v_dual_cndmask_b32 v3, v3, v19
	v_cmp_le_u32_e32 vcc_lo, s41, v18
	s_delay_alu instid0(VALU_DEP_2) | instskip(NEXT) | instid1(VALU_DEP_1)
	v_add_nc_u32_e32 v19, 1, v3
	v_dual_cndmask_b32 v18, v3, v19 :: v_dual_mov_b32 v19, v2
.LBB9_63:                               ;   in Loop: Header=BB9_54 Depth=4
	s_or_b32 exec_lo, exec_lo, s4
	s_delay_alu instid0(VALU_DEP_1) | instskip(NEXT) | instid1(VALU_DEP_2)
	v_mul_lo_u32 v3, v19, s41
	v_mul_lo_u32 v21, v18, s45
	v_mad_u64_u32 v[19:20], null, v18, s41, 0
	s_mov_b32 s4, exec_lo
	s_delay_alu instid0(VALU_DEP_1) | instskip(NEXT) | instid1(VALU_DEP_2)
	v_add3_u32 v3, v20, v21, v3
	v_sub_co_u32 v21, vcc_lo, v7, v19
	s_delay_alu instid0(VALU_DEP_2) | instskip(NEXT) | instid1(VALU_DEP_2)
	v_sub_co_ci_u32_e32 v3, vcc_lo, v16, v3, vcc_lo
	v_mul_lo_u32 v16, v21, s17
	v_mad_u64_u32 v[19:20], null, v21, s37, 0
	s_delay_alu instid0(VALU_DEP_3) | instskip(NEXT) | instid1(VALU_DEP_1)
	v_mul_lo_u32 v3, v3, s37
                                        ; implicit-def: $vgpr21_vgpr22
	v_add3_u32 v20, v20, v16, v3
	s_delay_alu instid0(VALU_DEP_1) | instskip(NEXT) | instid1(VALU_DEP_1)
	v_or_b32_e32 v3, s45, v20
	v_cmpx_ne_u64_e32 0, v[2:3]
	s_xor_b32 s31, exec_lo, s4
	s_cbranch_execz .LBB9_65
; %bb.64:                               ;   in Loop: Header=BB9_54 Depth=4
	s_add_u32 s28, s41, s45
	s_mov_b32 s26, s45
	s_mov_b32 s27, s45
	s_addc_u32 s29, s45, s45
	s_delay_alu instid0(SALU_CYCLE_1) | instskip(NEXT) | instid1(SALU_CYCLE_1)
	s_xor_b64 s[28:29], s[28:29], s[26:27]
	v_cvt_f32_u32_e32 v3, s28
	v_cvt_f32_u32_e32 v16, s29
	s_sub_u32 s4, 0, s28
	s_subb_u32 s27, 0, s29
	s_delay_alu instid0(VALU_DEP_1) | instskip(NEXT) | instid1(VALU_DEP_1)
	v_fmac_f32_e32 v3, 0x4f800000, v16
	v_rcp_f32_e32 v3, v3
	s_waitcnt_depctr 0xfff
	v_mul_f32_e32 v3, 0x5f7ffffc, v3
	s_delay_alu instid0(VALU_DEP_1) | instskip(NEXT) | instid1(VALU_DEP_1)
	v_mul_f32_e32 v16, 0x2f800000, v3
	v_trunc_f32_e32 v16, v16
	s_delay_alu instid0(VALU_DEP_1) | instskip(SKIP_1) | instid1(VALU_DEP_2)
	v_fmac_f32_e32 v3, 0xcf800000, v16
	v_cvt_u32_f32_e32 v16, v16
	v_cvt_u32_f32_e32 v3, v3
	s_delay_alu instid0(VALU_DEP_2) | instskip(NEXT) | instid1(VALU_DEP_2)
	v_mul_lo_u32 v21, s4, v16
	v_mul_hi_u32 v22, s4, v3
	v_mul_lo_u32 v23, s27, v3
	s_delay_alu instid0(VALU_DEP_2) | instskip(SKIP_1) | instid1(VALU_DEP_2)
	v_add_nc_u32_e32 v21, v22, v21
	v_mul_lo_u32 v22, s4, v3
	v_add_nc_u32_e32 v21, v21, v23
	s_delay_alu instid0(VALU_DEP_2) | instskip(NEXT) | instid1(VALU_DEP_2)
	v_mul_hi_u32 v23, v3, v22
	v_mul_lo_u32 v24, v3, v21
	v_mul_hi_u32 v25, v3, v21
	v_mul_hi_u32 v26, v16, v22
	v_mul_lo_u32 v22, v16, v22
	v_mul_hi_u32 v27, v16, v21
	v_mul_lo_u32 v21, v16, v21
	v_add_co_u32 v23, vcc_lo, v23, v24
	v_add_co_ci_u32_e32 v24, vcc_lo, 0, v25, vcc_lo
	s_delay_alu instid0(VALU_DEP_2) | instskip(NEXT) | instid1(VALU_DEP_2)
	v_add_co_u32 v22, vcc_lo, v23, v22
	v_add_co_ci_u32_e32 v22, vcc_lo, v24, v26, vcc_lo
	v_add_co_ci_u32_e32 v23, vcc_lo, 0, v27, vcc_lo
	v_ashrrev_i32_e32 v26, 31, v20
	s_delay_alu instid0(VALU_DEP_3) | instskip(NEXT) | instid1(VALU_DEP_3)
	v_add_co_u32 v21, vcc_lo, v22, v21
	v_add_co_ci_u32_e32 v22, vcc_lo, 0, v23, vcc_lo
	s_delay_alu instid0(VALU_DEP_2) | instskip(NEXT) | instid1(VALU_DEP_2)
	v_add_co_u32 v3, vcc_lo, v3, v21
	v_add_co_ci_u32_e32 v16, vcc_lo, v16, v22, vcc_lo
	s_delay_alu instid0(VALU_DEP_2) | instskip(SKIP_1) | instid1(VALU_DEP_3)
	v_mul_hi_u32 v21, s4, v3
	v_mul_lo_u32 v23, s27, v3
	v_mul_lo_u32 v22, s4, v16
	s_delay_alu instid0(VALU_DEP_1) | instskip(SKIP_1) | instid1(VALU_DEP_2)
	v_add_nc_u32_e32 v21, v21, v22
	v_mul_lo_u32 v22, s4, v3
	v_add_nc_u32_e32 v21, v21, v23
	s_delay_alu instid0(VALU_DEP_2) | instskip(NEXT) | instid1(VALU_DEP_2)
	v_mul_hi_u32 v23, v3, v22
	v_mul_lo_u32 v24, v3, v21
	v_mul_hi_u32 v25, v3, v21
	v_mul_hi_u32 v27, v16, v22
	v_mul_lo_u32 v22, v16, v22
	v_mul_hi_u32 v28, v16, v21
	v_mul_lo_u32 v21, v16, v21
	v_add_co_u32 v23, vcc_lo, v23, v24
	v_add_co_ci_u32_e32 v24, vcc_lo, 0, v25, vcc_lo
	s_delay_alu instid0(VALU_DEP_2) | instskip(NEXT) | instid1(VALU_DEP_2)
	v_add_co_u32 v22, vcc_lo, v23, v22
	v_add_co_ci_u32_e32 v22, vcc_lo, v24, v27, vcc_lo
	v_add_co_ci_u32_e32 v23, vcc_lo, 0, v28, vcc_lo
	v_add_co_u32 v19, vcc_lo, v19, v26
	v_add_co_ci_u32_e32 v20, vcc_lo, v20, v26, vcc_lo
	s_delay_alu instid0(VALU_DEP_4) | instskip(NEXT) | instid1(VALU_DEP_4)
	v_add_co_u32 v21, vcc_lo, v22, v21
	v_add_co_ci_u32_e32 v22, vcc_lo, 0, v23, vcc_lo
	s_delay_alu instid0(VALU_DEP_4) | instskip(NEXT) | instid1(VALU_DEP_3)
	v_xor_b32_e32 v25, v19, v26
	v_add_co_u32 v3, vcc_lo, v3, v21
	s_delay_alu instid0(VALU_DEP_3) | instskip(SKIP_1) | instid1(VALU_DEP_3)
	v_add_co_ci_u32_e32 v16, vcc_lo, v16, v22, vcc_lo
	v_xor_b32_e32 v27, v20, v26
	v_mul_hi_u32 v28, v25, v3
	s_delay_alu instid0(VALU_DEP_3) | instskip(NEXT) | instid1(VALU_DEP_3)
	v_mad_u64_u32 v[19:20], null, v25, v16, 0
	v_mad_u64_u32 v[21:22], null, v27, v3, 0
	;; [unrolled: 1-line block ×3, first 2 shown]
	s_delay_alu instid0(VALU_DEP_3) | instskip(NEXT) | instid1(VALU_DEP_4)
	v_add_co_u32 v3, vcc_lo, v28, v19
	v_add_co_ci_u32_e32 v16, vcc_lo, 0, v20, vcc_lo
	s_delay_alu instid0(VALU_DEP_2) | instskip(NEXT) | instid1(VALU_DEP_2)
	v_add_co_u32 v3, vcc_lo, v3, v21
	v_add_co_ci_u32_e32 v3, vcc_lo, v16, v22, vcc_lo
	v_add_co_ci_u32_e32 v16, vcc_lo, 0, v24, vcc_lo
	s_delay_alu instid0(VALU_DEP_2) | instskip(NEXT) | instid1(VALU_DEP_2)
	v_add_co_u32 v3, vcc_lo, v3, v23
	v_add_co_ci_u32_e32 v16, vcc_lo, 0, v16, vcc_lo
	s_delay_alu instid0(VALU_DEP_2) | instskip(SKIP_1) | instid1(VALU_DEP_3)
	v_mul_lo_u32 v21, s29, v3
	v_mad_u64_u32 v[19:20], null, s28, v3, 0
	v_mul_lo_u32 v16, s28, v16
	s_delay_alu instid0(VALU_DEP_2) | instskip(NEXT) | instid1(VALU_DEP_2)
	v_sub_co_u32 v19, vcc_lo, v25, v19
	v_add3_u32 v16, v20, v16, v21
	v_add_co_u32 v21, s4, v3, 2
	s_delay_alu instid0(VALU_DEP_2) | instskip(NEXT) | instid1(VALU_DEP_1)
	v_sub_nc_u32_e32 v20, v27, v16
	v_subrev_co_ci_u32_e64 v20, s4, s29, v20, vcc_lo
	v_sub_co_u32 v22, s4, v19, s28
	v_sub_co_ci_u32_e32 v16, vcc_lo, v27, v16, vcc_lo
	s_delay_alu instid0(VALU_DEP_3) | instskip(NEXT) | instid1(VALU_DEP_3)
	v_subrev_co_ci_u32_e64 v20, s4, 0, v20, s4
	v_cmp_le_u32_e32 vcc_lo, s28, v22
	v_cndmask_b32_e64 v22, 0, -1, vcc_lo
	s_delay_alu instid0(VALU_DEP_3)
	v_cmp_le_u32_e32 vcc_lo, s29, v20
	v_cndmask_b32_e64 v23, 0, -1, vcc_lo
	v_cmp_le_u32_e32 vcc_lo, s28, v19
	v_cndmask_b32_e64 v19, 0, -1, vcc_lo
	v_cmp_le_u32_e32 vcc_lo, s29, v16
	v_cndmask_b32_e64 v24, 0, -1, vcc_lo
	v_cmp_eq_u32_e32 vcc_lo, s29, v20
	v_cndmask_b32_e32 v20, v23, v22, vcc_lo
	v_add_co_u32 v22, vcc_lo, v3, 1
	v_cmp_eq_u32_e32 vcc_lo, s29, v16
                                        ; implicit-def: $vgpr23
	v_cndmask_b32_e32 v16, v24, v19, vcc_lo
	s_delay_alu instid0(VALU_DEP_4) | instskip(NEXT) | instid1(VALU_DEP_4)
	v_cmp_ne_u32_e32 vcc_lo, 0, v20
	v_cndmask_b32_e32 v19, v22, v21, vcc_lo
	s_delay_alu instid0(VALU_DEP_3) | instskip(SKIP_1) | instid1(VALU_DEP_3)
	v_cmp_ne_u32_e32 vcc_lo, 0, v16
	v_xor_b32_e32 v16, s26, v26
	v_cndmask_b32_e32 v3, v3, v19, vcc_lo
                                        ; implicit-def: $vgpr19_vgpr20
	s_delay_alu instid0(VALU_DEP_1) | instskip(NEXT) | instid1(VALU_DEP_1)
	v_xor_b32_e32 v3, v3, v16
	v_sub_co_u32 v21, vcc_lo, v3, v16
.LBB9_65:                               ;   in Loop: Header=BB9_54 Depth=4
	s_and_not1_saveexec_b32 s4, s31
	s_cbranch_execz .LBB9_67
; %bb.66:                               ;   in Loop: Header=BB9_54 Depth=4
	v_mul_f32_e32 v3, 0x4f7ffffe, v23
	s_sub_i32 s26, 0, s41
	s_delay_alu instid0(VALU_DEP_1) | instskip(NEXT) | instid1(VALU_DEP_1)
	v_cvt_u32_f32_e32 v3, v3
	v_mul_lo_u32 v16, s26, v3
	s_delay_alu instid0(VALU_DEP_1) | instskip(NEXT) | instid1(VALU_DEP_1)
	v_mul_hi_u32 v16, v3, v16
	v_add_nc_u32_e32 v3, v3, v16
	s_delay_alu instid0(VALU_DEP_1) | instskip(NEXT) | instid1(VALU_DEP_1)
	v_mul_hi_u32 v3, v19, v3
	v_mul_lo_u32 v16, v3, s41
	s_delay_alu instid0(VALU_DEP_1) | instskip(SKIP_1) | instid1(VALU_DEP_2)
	v_sub_nc_u32_e32 v16, v19, v16
	v_add_nc_u32_e32 v19, 1, v3
	v_subrev_nc_u32_e32 v20, s41, v16
	v_cmp_le_u32_e32 vcc_lo, s41, v16
	s_delay_alu instid0(VALU_DEP_2) | instskip(NEXT) | instid1(VALU_DEP_1)
	v_dual_cndmask_b32 v16, v16, v20 :: v_dual_cndmask_b32 v3, v3, v19
	v_cmp_le_u32_e32 vcc_lo, s41, v16
	s_delay_alu instid0(VALU_DEP_2) | instskip(NEXT) | instid1(VALU_DEP_1)
	v_add_nc_u32_e32 v19, 1, v3
	v_cndmask_b32_e32 v21, v3, v19, vcc_lo
.LBB9_67:                               ;   in Loop: Header=BB9_54 Depth=4
	s_or_b32 exec_lo, exec_lo, s4
	global_load_b32 v37, v[13:14], off
	v_mad_u64_u32 v[19:20], null, v18, s37, v[21:22]
	v_ashrrev_i32_e32 v16, 31, v15
	v_dual_mov_b32 v22, v9 :: v_dual_mov_b32 v21, v8
	s_mov_b32 s31, 0
	s_delay_alu instid0(VALU_DEP_3) | instskip(NEXT) | instid1(VALU_DEP_3)
	v_sub_nc_u32_e32 v3, v17, v19
	v_lshlrev_b64 v[18:19], 2, v[15:16]
	s_delay_alu instid0(VALU_DEP_2) | instskip(NEXT) | instid1(VALU_DEP_2)
	v_mad_u64_u32 v[16:17], null, v0, v3, v[0:1]
	v_add_co_u32 v17, vcc_lo, s22, v18
	s_delay_alu instid0(VALU_DEP_3)
	v_add_co_ci_u32_e32 v18, vcc_lo, s23, v19, vcc_lo
	v_dual_mov_b32 v20, v11 :: v_dual_mov_b32 v19, v10
	s_branch .LBB9_69
.LBB9_68:                               ;   in Loop: Header=BB9_69 Depth=5
	s_or_b32 exec_lo, exec_lo, s4
	global_load_b32 v3, v[17:18], off
	v_mad_u64_u32 v[25:26], null, v24, s40, v[27:28]
	v_add_co_u32 v19, s4, v19, s40
	s_delay_alu instid0(VALU_DEP_1) | instskip(NEXT) | instid1(VALU_DEP_3)
	v_add_co_ci_u32_e64 v20, s4, s33, v20, s4
	v_sub_nc_u32_e32 v25, v23, v25
	s_delay_alu instid0(VALU_DEP_1) | instskip(NEXT) | instid1(VALU_DEP_1)
	v_mad_u64_u32 v[23:24], null, v16, v25, v[16:17]
	v_cvt_f32_i32_e32 v23, v23
	s_waitcnt vmcnt(0)
	s_delay_alu instid0(VALU_DEP_1) | instskip(SKIP_1) | instid1(VALU_DEP_2)
	v_div_scale_f32 v24, null, v23, v23, v3
	v_div_scale_f32 v27, vcc_lo, v3, v23, v3
	v_rcp_f32_e32 v25, v24
	s_waitcnt_depctr 0xfff
	v_fma_f32 v26, -v24, v25, 1.0
	s_delay_alu instid0(VALU_DEP_1) | instskip(NEXT) | instid1(VALU_DEP_1)
	v_fmac_f32_e32 v25, v26, v25
	v_mul_f32_e32 v26, v27, v25
	s_delay_alu instid0(VALU_DEP_1) | instskip(NEXT) | instid1(VALU_DEP_1)
	v_fma_f32 v28, -v24, v26, v27
	v_fmac_f32_e32 v26, v28, v25
	s_delay_alu instid0(VALU_DEP_1) | instskip(NEXT) | instid1(VALU_DEP_1)
	v_fma_f32 v24, -v24, v26, v27
	v_div_fmas_f32 v24, v24, v25, v26
	v_add_co_u32 v21, vcc_lo, v21, 1
	v_add_co_ci_u32_e32 v22, vcc_lo, 0, v22, vcc_lo
	s_delay_alu instid0(VALU_DEP_3) | instskip(SKIP_2) | instid1(VALU_DEP_3)
	v_div_fixup_f32 v3, v24, v23, v3
	v_add_co_u32 v17, vcc_lo, v17, 4
	v_add_co_ci_u32_e32 v18, vcc_lo, 0, v18, vcc_lo
	v_add_f32_e32 v37, v37, v3
	v_cmp_ge_i32_e32 vcc_lo, v21, v36
	global_store_b32 v[13:14], v37, off
	s_or_b32 s31, vcc_lo, s31
	s_delay_alu instid0(SALU_CYCLE_1)
	s_and_not1_b32 exec_lo, exec_lo, s31
	s_cbranch_execz .LBB9_53
.LBB9_69:                               ;   Parent Loop BB9_12 Depth=1
                                        ;     Parent Loop BB9_27 Depth=2
                                        ;       Parent Loop BB9_42 Depth=3
                                        ;         Parent Loop BB9_54 Depth=4
                                        ; =>        This Inner Loop Header: Depth=5
	s_delay_alu instid0(VALU_DEP_1) | instskip(SKIP_1) | instid1(VALU_DEP_1)
	v_or_b32_e32 v3, s46, v20
                                        ; implicit-def: $vgpr23_vgpr24
	s_mov_b32 s4, exec_lo
	v_cmpx_ne_u64_e32 0, v[2:3]
	s_xor_b32 s34, exec_lo, s4
	s_cbranch_execz .LBB9_71
; %bb.70:                               ;   in Loop: Header=BB9_69 Depth=5
	s_add_u32 s28, s42, s46
	s_mov_b32 s26, s46
	s_mov_b32 s27, s46
	s_addc_u32 s29, s46, s46
	s_delay_alu instid0(SALU_CYCLE_1) | instskip(NEXT) | instid1(SALU_CYCLE_1)
	s_xor_b64 s[28:29], s[28:29], s[26:27]
	v_cvt_f32_u32_e32 v3, s28
	v_cvt_f32_u32_e32 v23, s29
	s_sub_u32 s4, 0, s28
	s_subb_u32 s27, 0, s29
	s_delay_alu instid0(VALU_DEP_1) | instskip(NEXT) | instid1(VALU_DEP_1)
	v_fmac_f32_e32 v3, 0x4f800000, v23
	v_rcp_f32_e32 v3, v3
	s_waitcnt_depctr 0xfff
	v_mul_f32_e32 v3, 0x5f7ffffc, v3
	s_delay_alu instid0(VALU_DEP_1) | instskip(NEXT) | instid1(VALU_DEP_1)
	v_mul_f32_e32 v23, 0x2f800000, v3
	v_trunc_f32_e32 v23, v23
	s_delay_alu instid0(VALU_DEP_1) | instskip(SKIP_1) | instid1(VALU_DEP_2)
	v_fmac_f32_e32 v3, 0xcf800000, v23
	v_cvt_u32_f32_e32 v23, v23
	v_cvt_u32_f32_e32 v3, v3
	s_delay_alu instid0(VALU_DEP_2) | instskip(NEXT) | instid1(VALU_DEP_2)
	v_mul_lo_u32 v24, s4, v23
	v_mul_hi_u32 v25, s4, v3
	v_mul_lo_u32 v26, s27, v3
	s_delay_alu instid0(VALU_DEP_2) | instskip(SKIP_1) | instid1(VALU_DEP_2)
	v_add_nc_u32_e32 v24, v25, v24
	v_mul_lo_u32 v25, s4, v3
	v_add_nc_u32_e32 v24, v24, v26
	s_delay_alu instid0(VALU_DEP_2) | instskip(NEXT) | instid1(VALU_DEP_2)
	v_mul_hi_u32 v26, v3, v25
	v_mul_lo_u32 v27, v3, v24
	v_mul_hi_u32 v28, v3, v24
	v_mul_hi_u32 v38, v23, v25
	v_mul_lo_u32 v25, v23, v25
	v_mul_hi_u32 v39, v23, v24
	v_mul_lo_u32 v24, v23, v24
	v_add_co_u32 v26, vcc_lo, v26, v27
	v_add_co_ci_u32_e32 v27, vcc_lo, 0, v28, vcc_lo
	s_delay_alu instid0(VALU_DEP_2) | instskip(NEXT) | instid1(VALU_DEP_2)
	v_add_co_u32 v25, vcc_lo, v26, v25
	v_add_co_ci_u32_e32 v25, vcc_lo, v27, v38, vcc_lo
	v_add_co_ci_u32_e32 v26, vcc_lo, 0, v39, vcc_lo
	v_ashrrev_i32_e32 v38, 31, v20
	s_delay_alu instid0(VALU_DEP_3) | instskip(NEXT) | instid1(VALU_DEP_3)
	v_add_co_u32 v24, vcc_lo, v25, v24
	v_add_co_ci_u32_e32 v25, vcc_lo, 0, v26, vcc_lo
	s_delay_alu instid0(VALU_DEP_2) | instskip(NEXT) | instid1(VALU_DEP_2)
	v_add_co_u32 v3, vcc_lo, v3, v24
	v_add_co_ci_u32_e32 v23, vcc_lo, v23, v25, vcc_lo
	s_delay_alu instid0(VALU_DEP_2) | instskip(SKIP_1) | instid1(VALU_DEP_3)
	v_mul_hi_u32 v24, s4, v3
	v_mul_lo_u32 v26, s27, v3
	v_mul_lo_u32 v25, s4, v23
	s_delay_alu instid0(VALU_DEP_1) | instskip(SKIP_1) | instid1(VALU_DEP_2)
	v_add_nc_u32_e32 v24, v24, v25
	v_mul_lo_u32 v25, s4, v3
	v_add_nc_u32_e32 v24, v24, v26
	s_delay_alu instid0(VALU_DEP_2) | instskip(NEXT) | instid1(VALU_DEP_2)
	v_mul_hi_u32 v26, v3, v25
	v_mul_lo_u32 v27, v3, v24
	v_mul_hi_u32 v28, v3, v24
	v_mul_hi_u32 v39, v23, v25
	v_mul_lo_u32 v25, v23, v25
	v_mul_hi_u32 v40, v23, v24
	v_mul_lo_u32 v24, v23, v24
	v_add_co_u32 v26, vcc_lo, v26, v27
	v_add_co_ci_u32_e32 v27, vcc_lo, 0, v28, vcc_lo
	s_delay_alu instid0(VALU_DEP_2) | instskip(NEXT) | instid1(VALU_DEP_2)
	v_add_co_u32 v25, vcc_lo, v26, v25
	v_add_co_ci_u32_e32 v25, vcc_lo, v27, v39, vcc_lo
	v_add_co_ci_u32_e32 v26, vcc_lo, 0, v40, vcc_lo
	v_add_co_u32 v27, vcc_lo, v19, v38
	v_add_co_ci_u32_e32 v28, vcc_lo, v20, v38, vcc_lo
	s_delay_alu instid0(VALU_DEP_4) | instskip(NEXT) | instid1(VALU_DEP_4)
	v_add_co_u32 v24, vcc_lo, v25, v24
	v_add_co_ci_u32_e32 v25, vcc_lo, 0, v26, vcc_lo
	s_delay_alu instid0(VALU_DEP_4) | instskip(NEXT) | instid1(VALU_DEP_3)
	v_xor_b32_e32 v39, v27, v38
	v_add_co_u32 v3, vcc_lo, v3, v24
	s_delay_alu instid0(VALU_DEP_3) | instskip(SKIP_1) | instid1(VALU_DEP_3)
	v_add_co_ci_u32_e32 v40, vcc_lo, v23, v25, vcc_lo
	v_xor_b32_e32 v41, v28, v38
	v_mul_hi_u32 v42, v39, v3
	s_delay_alu instid0(VALU_DEP_3) | instskip(NEXT) | instid1(VALU_DEP_3)
	v_mad_u64_u32 v[23:24], null, v39, v40, 0
	v_mad_u64_u32 v[25:26], null, v41, v3, 0
	;; [unrolled: 1-line block ×3, first 2 shown]
	s_delay_alu instid0(VALU_DEP_3) | instskip(NEXT) | instid1(VALU_DEP_4)
	v_add_co_u32 v3, vcc_lo, v42, v23
	v_add_co_ci_u32_e32 v23, vcc_lo, 0, v24, vcc_lo
	s_delay_alu instid0(VALU_DEP_2) | instskip(NEXT) | instid1(VALU_DEP_2)
	v_add_co_u32 v3, vcc_lo, v3, v25
	v_add_co_ci_u32_e32 v3, vcc_lo, v23, v26, vcc_lo
	v_add_co_ci_u32_e32 v23, vcc_lo, 0, v28, vcc_lo
	s_delay_alu instid0(VALU_DEP_2) | instskip(NEXT) | instid1(VALU_DEP_2)
	v_add_co_u32 v3, vcc_lo, v3, v27
	v_add_co_ci_u32_e32 v25, vcc_lo, 0, v23, vcc_lo
	s_delay_alu instid0(VALU_DEP_2) | instskip(SKIP_1) | instid1(VALU_DEP_3)
	v_mul_lo_u32 v26, s29, v3
	v_mad_u64_u32 v[23:24], null, s28, v3, 0
	v_mul_lo_u32 v25, s28, v25
	s_delay_alu instid0(VALU_DEP_2) | instskip(NEXT) | instid1(VALU_DEP_2)
	v_sub_co_u32 v23, vcc_lo, v39, v23
	v_add3_u32 v24, v24, v25, v26
	v_add_co_u32 v26, s4, v3, 2
	s_delay_alu instid0(VALU_DEP_2) | instskip(NEXT) | instid1(VALU_DEP_1)
	v_sub_nc_u32_e32 v25, v41, v24
	v_subrev_co_ci_u32_e64 v25, s4, s29, v25, vcc_lo
	v_sub_co_u32 v27, s4, v23, s28
	v_sub_co_ci_u32_e32 v24, vcc_lo, v41, v24, vcc_lo
	s_delay_alu instid0(VALU_DEP_3) | instskip(NEXT) | instid1(VALU_DEP_3)
	v_subrev_co_ci_u32_e64 v25, s4, 0, v25, s4
	v_cmp_le_u32_e32 vcc_lo, s28, v27
	v_cndmask_b32_e64 v27, 0, -1, vcc_lo
	s_delay_alu instid0(VALU_DEP_3)
	v_cmp_le_u32_e32 vcc_lo, s29, v25
	v_cndmask_b32_e64 v28, 0, -1, vcc_lo
	v_cmp_le_u32_e32 vcc_lo, s28, v23
	v_cndmask_b32_e64 v23, 0, -1, vcc_lo
	v_cmp_le_u32_e32 vcc_lo, s29, v24
	v_cndmask_b32_e64 v39, 0, -1, vcc_lo
	v_cmp_eq_u32_e32 vcc_lo, s29, v25
	v_cndmask_b32_e32 v25, v28, v27, vcc_lo
	v_add_co_u32 v27, vcc_lo, v3, 1
	v_cmp_eq_u32_e32 vcc_lo, s29, v24
	v_cndmask_b32_e32 v23, v39, v23, vcc_lo
	s_delay_alu instid0(VALU_DEP_4) | instskip(NEXT) | instid1(VALU_DEP_4)
	v_cmp_ne_u32_e32 vcc_lo, 0, v25
	v_cndmask_b32_e32 v24, v27, v26, vcc_lo
	s_delay_alu instid0(VALU_DEP_3) | instskip(SKIP_1) | instid1(VALU_DEP_3)
	v_cmp_ne_u32_e32 vcc_lo, 0, v23
	v_xor_b32_e32 v23, s26, v38
	v_cndmask_b32_e32 v3, v3, v24, vcc_lo
	s_delay_alu instid0(VALU_DEP_1) | instskip(NEXT) | instid1(VALU_DEP_1)
	v_xor_b32_e32 v3, v3, v23
	v_sub_co_u32 v23, vcc_lo, v3, v23
.LBB9_71:                               ;   in Loop: Header=BB9_69 Depth=5
	s_or_saveexec_b32 s4, s34
	v_cvt_f32_u32_e32 v38, s42
	s_xor_b32 exec_lo, exec_lo, s4
	s_cbranch_execz .LBB9_73
; %bb.72:                               ;   in Loop: Header=BB9_69 Depth=5
	s_delay_alu instid0(VALU_DEP_1) | instskip(SKIP_3) | instid1(VALU_DEP_1)
	v_rcp_iflag_f32_e32 v3, v38
	s_sub_i32 s26, 0, s42
	s_waitcnt_depctr 0xfff
	v_mul_f32_e32 v3, 0x4f7ffffe, v3
	v_cvt_u32_f32_e32 v3, v3
	s_delay_alu instid0(VALU_DEP_1) | instskip(NEXT) | instid1(VALU_DEP_1)
	v_mul_lo_u32 v23, s26, v3
	v_mul_hi_u32 v23, v3, v23
	s_delay_alu instid0(VALU_DEP_1) | instskip(NEXT) | instid1(VALU_DEP_1)
	v_add_nc_u32_e32 v3, v3, v23
	v_mul_hi_u32 v3, v19, v3
	s_delay_alu instid0(VALU_DEP_1) | instskip(NEXT) | instid1(VALU_DEP_1)
	v_mul_lo_u32 v23, v3, s42
	v_sub_nc_u32_e32 v23, v19, v23
	s_delay_alu instid0(VALU_DEP_1) | instskip(SKIP_1) | instid1(VALU_DEP_2)
	v_subrev_nc_u32_e32 v25, s42, v23
	v_cmp_le_u32_e32 vcc_lo, s42, v23
	v_dual_cndmask_b32 v23, v23, v25 :: v_dual_add_nc_u32 v24, 1, v3
	s_delay_alu instid0(VALU_DEP_1) | instskip(NEXT) | instid1(VALU_DEP_2)
	v_cndmask_b32_e32 v3, v3, v24, vcc_lo
	v_cmp_le_u32_e32 vcc_lo, s42, v23
	s_delay_alu instid0(VALU_DEP_2) | instskip(NEXT) | instid1(VALU_DEP_1)
	v_add_nc_u32_e32 v24, 1, v3
	v_cndmask_b32_e32 v23, v3, v24, vcc_lo
.LBB9_73:                               ;   in Loop: Header=BB9_69 Depth=5
	s_or_b32 exec_lo, exec_lo, s4
	v_or_b32_e32 v3, s46, v22
                                        ; implicit-def: $vgpr24_vgpr25
	s_mov_b32 s4, exec_lo
	s_delay_alu instid0(VALU_DEP_1)
	v_cmpx_ne_u64_e32 0, v[2:3]
	s_xor_b32 s34, exec_lo, s4
	s_cbranch_execz .LBB9_75
; %bb.74:                               ;   in Loop: Header=BB9_69 Depth=5
	s_add_u32 s28, s42, s46
	s_mov_b32 s26, s46
	s_mov_b32 s27, s46
	s_addc_u32 s29, s46, s46
	s_delay_alu instid0(SALU_CYCLE_1) | instskip(NEXT) | instid1(SALU_CYCLE_1)
	s_xor_b64 s[28:29], s[28:29], s[26:27]
	v_cvt_f32_u32_e32 v3, s28
	v_cvt_f32_u32_e32 v24, s29
	s_sub_u32 s4, 0, s28
	s_subb_u32 s35, 0, s29
	s_delay_alu instid0(VALU_DEP_1) | instskip(NEXT) | instid1(VALU_DEP_1)
	v_fmac_f32_e32 v3, 0x4f800000, v24
	v_rcp_f32_e32 v3, v3
	s_waitcnt_depctr 0xfff
	v_mul_f32_e32 v3, 0x5f7ffffc, v3
	s_delay_alu instid0(VALU_DEP_1) | instskip(NEXT) | instid1(VALU_DEP_1)
	v_mul_f32_e32 v24, 0x2f800000, v3
	v_trunc_f32_e32 v24, v24
	s_delay_alu instid0(VALU_DEP_1) | instskip(SKIP_1) | instid1(VALU_DEP_2)
	v_fmac_f32_e32 v3, 0xcf800000, v24
	v_cvt_u32_f32_e32 v24, v24
	v_cvt_u32_f32_e32 v3, v3
	s_delay_alu instid0(VALU_DEP_2) | instskip(NEXT) | instid1(VALU_DEP_2)
	v_mul_lo_u32 v25, s4, v24
	v_mul_hi_u32 v26, s4, v3
	v_mul_lo_u32 v27, s35, v3
	s_delay_alu instid0(VALU_DEP_2) | instskip(SKIP_1) | instid1(VALU_DEP_2)
	v_add_nc_u32_e32 v25, v26, v25
	v_mul_lo_u32 v26, s4, v3
	v_add_nc_u32_e32 v25, v25, v27
	s_delay_alu instid0(VALU_DEP_2) | instskip(NEXT) | instid1(VALU_DEP_2)
	v_mul_hi_u32 v27, v3, v26
	v_mul_lo_u32 v28, v3, v25
	v_mul_hi_u32 v39, v3, v25
	v_mul_hi_u32 v40, v24, v26
	v_mul_lo_u32 v26, v24, v26
	v_mul_hi_u32 v41, v24, v25
	v_mul_lo_u32 v25, v24, v25
	v_add_co_u32 v27, vcc_lo, v27, v28
	v_add_co_ci_u32_e32 v28, vcc_lo, 0, v39, vcc_lo
	s_delay_alu instid0(VALU_DEP_2) | instskip(NEXT) | instid1(VALU_DEP_2)
	v_add_co_u32 v26, vcc_lo, v27, v26
	v_add_co_ci_u32_e32 v26, vcc_lo, v28, v40, vcc_lo
	v_add_co_ci_u32_e32 v27, vcc_lo, 0, v41, vcc_lo
	v_ashrrev_i32_e32 v41, 31, v22
	s_delay_alu instid0(VALU_DEP_3) | instskip(NEXT) | instid1(VALU_DEP_3)
	v_add_co_u32 v25, vcc_lo, v26, v25
	v_add_co_ci_u32_e32 v26, vcc_lo, 0, v27, vcc_lo
	s_delay_alu instid0(VALU_DEP_2) | instskip(NEXT) | instid1(VALU_DEP_2)
	v_add_co_u32 v3, vcc_lo, v3, v25
	v_add_co_ci_u32_e32 v24, vcc_lo, v24, v26, vcc_lo
	s_delay_alu instid0(VALU_DEP_2) | instskip(SKIP_1) | instid1(VALU_DEP_3)
	v_mul_hi_u32 v25, s4, v3
	v_mul_lo_u32 v27, s35, v3
	v_mul_lo_u32 v26, s4, v24
	s_delay_alu instid0(VALU_DEP_1) | instskip(SKIP_1) | instid1(VALU_DEP_2)
	v_add_nc_u32_e32 v25, v25, v26
	v_mul_lo_u32 v26, s4, v3
	v_add_nc_u32_e32 v25, v25, v27
	s_delay_alu instid0(VALU_DEP_2) | instskip(NEXT) | instid1(VALU_DEP_2)
	v_mul_hi_u32 v27, v3, v26
	v_mul_lo_u32 v28, v3, v25
	v_mul_hi_u32 v39, v3, v25
	v_mul_hi_u32 v40, v24, v26
	v_mul_lo_u32 v26, v24, v26
	v_mul_hi_u32 v42, v24, v25
	v_mul_lo_u32 v25, v24, v25
	v_add_co_u32 v27, vcc_lo, v27, v28
	v_add_co_ci_u32_e32 v28, vcc_lo, 0, v39, vcc_lo
	s_delay_alu instid0(VALU_DEP_2) | instskip(NEXT) | instid1(VALU_DEP_2)
	v_add_co_u32 v26, vcc_lo, v27, v26
	v_add_co_ci_u32_e32 v26, vcc_lo, v28, v40, vcc_lo
	v_add_co_ci_u32_e32 v27, vcc_lo, 0, v42, vcc_lo
	v_add_co_u32 v28, vcc_lo, v21, v41
	v_add_co_ci_u32_e32 v39, vcc_lo, v22, v41, vcc_lo
	s_delay_alu instid0(VALU_DEP_4) | instskip(NEXT) | instid1(VALU_DEP_4)
	v_add_co_u32 v25, vcc_lo, v26, v25
	v_add_co_ci_u32_e32 v26, vcc_lo, 0, v27, vcc_lo
	s_delay_alu instid0(VALU_DEP_4) | instskip(NEXT) | instid1(VALU_DEP_3)
	v_xor_b32_e32 v28, v28, v41
	v_add_co_u32 v3, vcc_lo, v3, v25
	s_delay_alu instid0(VALU_DEP_3) | instskip(SKIP_1) | instid1(VALU_DEP_3)
	v_add_co_ci_u32_e32 v42, vcc_lo, v24, v26, vcc_lo
	v_xor_b32_e32 v43, v39, v41
	v_mul_hi_u32 v44, v28, v3
	s_delay_alu instid0(VALU_DEP_3) | instskip(NEXT) | instid1(VALU_DEP_3)
	v_mad_u64_u32 v[24:25], null, v28, v42, 0
	v_mad_u64_u32 v[26:27], null, v43, v3, 0
	;; [unrolled: 1-line block ×3, first 2 shown]
	s_delay_alu instid0(VALU_DEP_3) | instskip(NEXT) | instid1(VALU_DEP_4)
	v_add_co_u32 v3, vcc_lo, v44, v24
	v_add_co_ci_u32_e32 v24, vcc_lo, 0, v25, vcc_lo
	s_delay_alu instid0(VALU_DEP_2) | instskip(NEXT) | instid1(VALU_DEP_2)
	v_add_co_u32 v3, vcc_lo, v3, v26
	v_add_co_ci_u32_e32 v3, vcc_lo, v24, v27, vcc_lo
	v_add_co_ci_u32_e32 v24, vcc_lo, 0, v40, vcc_lo
	s_delay_alu instid0(VALU_DEP_2) | instskip(NEXT) | instid1(VALU_DEP_2)
	v_add_co_u32 v3, vcc_lo, v3, v39
	v_add_co_ci_u32_e32 v26, vcc_lo, 0, v24, vcc_lo
	s_delay_alu instid0(VALU_DEP_2) | instskip(SKIP_1) | instid1(VALU_DEP_3)
	v_mul_lo_u32 v27, s29, v3
	v_mad_u64_u32 v[24:25], null, s28, v3, 0
	v_mul_lo_u32 v39, s28, v26
	s_delay_alu instid0(VALU_DEP_2) | instskip(NEXT) | instid1(VALU_DEP_2)
	v_sub_co_u32 v24, vcc_lo, v28, v24
	v_add3_u32 v25, v25, v39, v27
	s_delay_alu instid0(VALU_DEP_1) | instskip(NEXT) | instid1(VALU_DEP_1)
	v_sub_nc_u32_e32 v27, v43, v25
	v_subrev_co_ci_u32_e64 v27, s4, s29, v27, vcc_lo
	v_add_co_u32 v28, s4, v3, 2
	s_delay_alu instid0(VALU_DEP_1) | instskip(SKIP_3) | instid1(VALU_DEP_3)
	v_add_co_ci_u32_e64 v39, s4, 0, v26, s4
	v_sub_co_u32 v40, s4, v24, s28
	v_sub_co_ci_u32_e32 v25, vcc_lo, v43, v25, vcc_lo
	v_subrev_co_ci_u32_e64 v27, s4, 0, v27, s4
	v_cmp_le_u32_e32 vcc_lo, s28, v40
	s_delay_alu instid0(VALU_DEP_3) | instskip(SKIP_1) | instid1(VALU_DEP_4)
	v_cmp_eq_u32_e64 s4, s29, v25
	v_cndmask_b32_e64 v40, 0, -1, vcc_lo
	v_cmp_le_u32_e32 vcc_lo, s29, v27
	v_cndmask_b32_e64 v42, 0, -1, vcc_lo
	v_cmp_le_u32_e32 vcc_lo, s28, v24
	;; [unrolled: 2-line block ×3, first 2 shown]
	v_cndmask_b32_e64 v43, 0, -1, vcc_lo
	v_cmp_eq_u32_e32 vcc_lo, s29, v27
	s_delay_alu instid0(VALU_DEP_2) | instskip(SKIP_3) | instid1(VALU_DEP_3)
	v_cndmask_b32_e64 v24, v43, v24, s4
	v_cndmask_b32_e32 v27, v42, v40, vcc_lo
	v_add_co_u32 v40, vcc_lo, v3, 1
	v_add_co_ci_u32_e32 v42, vcc_lo, 0, v26, vcc_lo
	v_cmp_ne_u32_e32 vcc_lo, 0, v27
	s_delay_alu instid0(VALU_DEP_2) | instskip(NEXT) | instid1(VALU_DEP_4)
	v_cndmask_b32_e32 v25, v42, v39, vcc_lo
	v_cndmask_b32_e32 v27, v40, v28, vcc_lo
	v_cmp_ne_u32_e32 vcc_lo, 0, v24
	v_xor_b32_e32 v24, s26, v41
	s_delay_alu instid0(VALU_DEP_3) | instskip(SKIP_2) | instid1(VALU_DEP_3)
	v_cndmask_b32_e32 v3, v3, v27, vcc_lo
	v_cndmask_b32_e32 v25, v26, v25, vcc_lo
	v_xor_b32_e32 v26, s27, v41
	v_xor_b32_e32 v3, v3, v24
	s_delay_alu instid0(VALU_DEP_2) | instskip(NEXT) | instid1(VALU_DEP_2)
	v_xor_b32_e32 v25, v25, v26
	v_sub_co_u32 v24, vcc_lo, v3, v24
	s_delay_alu instid0(VALU_DEP_2)
	v_sub_co_ci_u32_e32 v25, vcc_lo, v25, v26, vcc_lo
.LBB9_75:                               ;   in Loop: Header=BB9_69 Depth=5
	s_and_not1_saveexec_b32 s4, s34
	s_cbranch_execz .LBB9_77
; %bb.76:                               ;   in Loop: Header=BB9_69 Depth=5
	v_rcp_iflag_f32_e32 v3, v38
	s_sub_i32 s26, 0, s42
	s_waitcnt_depctr 0xfff
	v_mul_f32_e32 v3, 0x4f7ffffe, v3
	s_delay_alu instid0(VALU_DEP_1) | instskip(NEXT) | instid1(VALU_DEP_1)
	v_cvt_u32_f32_e32 v3, v3
	v_mul_lo_u32 v24, s26, v3
	s_delay_alu instid0(VALU_DEP_1) | instskip(NEXT) | instid1(VALU_DEP_1)
	v_mul_hi_u32 v24, v3, v24
	v_add_nc_u32_e32 v3, v3, v24
	s_delay_alu instid0(VALU_DEP_1) | instskip(NEXT) | instid1(VALU_DEP_1)
	v_mul_hi_u32 v3, v21, v3
	v_mul_lo_u32 v24, v3, s42
	v_add_nc_u32_e32 v25, 1, v3
	s_delay_alu instid0(VALU_DEP_2) | instskip(NEXT) | instid1(VALU_DEP_1)
	v_sub_nc_u32_e32 v24, v21, v24
	v_subrev_nc_u32_e32 v26, s42, v24
	v_cmp_le_u32_e32 vcc_lo, s42, v24
	s_delay_alu instid0(VALU_DEP_2) | instskip(NEXT) | instid1(VALU_DEP_1)
	v_dual_cndmask_b32 v24, v24, v26 :: v_dual_cndmask_b32 v3, v3, v25
	v_cmp_le_u32_e32 vcc_lo, s42, v24
	s_delay_alu instid0(VALU_DEP_2) | instskip(NEXT) | instid1(VALU_DEP_1)
	v_add_nc_u32_e32 v25, 1, v3
	v_dual_cndmask_b32 v24, v3, v25 :: v_dual_mov_b32 v25, v2
.LBB9_77:                               ;   in Loop: Header=BB9_69 Depth=5
	s_or_b32 exec_lo, exec_lo, s4
	s_delay_alu instid0(VALU_DEP_1) | instskip(NEXT) | instid1(VALU_DEP_2)
	v_mul_lo_u32 v3, v25, s42
	v_mul_lo_u32 v27, v24, s46
	v_mad_u64_u32 v[25:26], null, v24, s42, 0
	s_mov_b32 s4, exec_lo
	s_delay_alu instid0(VALU_DEP_1) | instskip(NEXT) | instid1(VALU_DEP_2)
	v_add3_u32 v3, v26, v27, v3
	v_sub_co_u32 v27, vcc_lo, v21, v25
	s_delay_alu instid0(VALU_DEP_2) | instskip(NEXT) | instid1(VALU_DEP_2)
	v_sub_co_ci_u32_e32 v3, vcc_lo, v22, v3, vcc_lo
	v_mul_lo_u32 v28, v27, s33
	v_mad_u64_u32 v[25:26], null, v27, s40, 0
	s_delay_alu instid0(VALU_DEP_3) | instskip(NEXT) | instid1(VALU_DEP_1)
	v_mul_lo_u32 v3, v3, s40
	v_add3_u32 v26, v26, v28, v3
                                        ; implicit-def: $vgpr27_vgpr28
	s_delay_alu instid0(VALU_DEP_1) | instskip(NEXT) | instid1(VALU_DEP_1)
	v_or_b32_e32 v3, s46, v26
	v_cmpx_ne_u64_e32 0, v[2:3]
	s_xor_b32 s34, exec_lo, s4
	s_cbranch_execz .LBB9_79
; %bb.78:                               ;   in Loop: Header=BB9_69 Depth=5
	s_add_u32 s28, s42, s46
	s_mov_b32 s26, s46
	s_mov_b32 s27, s46
	s_addc_u32 s29, s46, s46
	s_delay_alu instid0(SALU_CYCLE_1) | instskip(NEXT) | instid1(SALU_CYCLE_1)
	s_xor_b64 s[28:29], s[28:29], s[26:27]
	v_cvt_f32_u32_e32 v3, s28
	v_cvt_f32_u32_e32 v27, s29
	s_sub_u32 s4, 0, s28
	s_subb_u32 s27, 0, s29
	s_delay_alu instid0(VALU_DEP_1) | instskip(NEXT) | instid1(VALU_DEP_1)
	v_fmac_f32_e32 v3, 0x4f800000, v27
	v_rcp_f32_e32 v3, v3
	s_waitcnt_depctr 0xfff
	v_mul_f32_e32 v3, 0x5f7ffffc, v3
	s_delay_alu instid0(VALU_DEP_1) | instskip(NEXT) | instid1(VALU_DEP_1)
	v_mul_f32_e32 v27, 0x2f800000, v3
	v_trunc_f32_e32 v27, v27
	s_delay_alu instid0(VALU_DEP_1) | instskip(SKIP_1) | instid1(VALU_DEP_2)
	v_fmac_f32_e32 v3, 0xcf800000, v27
	v_cvt_u32_f32_e32 v27, v27
	v_cvt_u32_f32_e32 v3, v3
	s_delay_alu instid0(VALU_DEP_2) | instskip(NEXT) | instid1(VALU_DEP_2)
	v_mul_lo_u32 v28, s4, v27
	v_mul_hi_u32 v38, s4, v3
	v_mul_lo_u32 v39, s27, v3
	s_delay_alu instid0(VALU_DEP_2) | instskip(SKIP_1) | instid1(VALU_DEP_2)
	v_add_nc_u32_e32 v28, v38, v28
	v_mul_lo_u32 v38, s4, v3
	v_add_nc_u32_e32 v28, v28, v39
	s_delay_alu instid0(VALU_DEP_2) | instskip(NEXT) | instid1(VALU_DEP_2)
	v_mul_hi_u32 v39, v3, v38
	v_mul_lo_u32 v40, v3, v28
	v_mul_hi_u32 v41, v3, v28
	v_mul_hi_u32 v42, v27, v38
	v_mul_lo_u32 v38, v27, v38
	v_mul_hi_u32 v43, v27, v28
	v_mul_lo_u32 v28, v27, v28
	v_add_co_u32 v39, vcc_lo, v39, v40
	v_add_co_ci_u32_e32 v40, vcc_lo, 0, v41, vcc_lo
	s_delay_alu instid0(VALU_DEP_2) | instskip(NEXT) | instid1(VALU_DEP_2)
	v_add_co_u32 v38, vcc_lo, v39, v38
	v_add_co_ci_u32_e32 v38, vcc_lo, v40, v42, vcc_lo
	v_add_co_ci_u32_e32 v39, vcc_lo, 0, v43, vcc_lo
	v_ashrrev_i32_e32 v42, 31, v26
	s_delay_alu instid0(VALU_DEP_3) | instskip(NEXT) | instid1(VALU_DEP_3)
	v_add_co_u32 v28, vcc_lo, v38, v28
	v_add_co_ci_u32_e32 v38, vcc_lo, 0, v39, vcc_lo
	s_delay_alu instid0(VALU_DEP_2) | instskip(NEXT) | instid1(VALU_DEP_2)
	v_add_co_u32 v3, vcc_lo, v3, v28
	v_add_co_ci_u32_e32 v27, vcc_lo, v27, v38, vcc_lo
	s_delay_alu instid0(VALU_DEP_2) | instskip(SKIP_1) | instid1(VALU_DEP_3)
	v_mul_hi_u32 v28, s4, v3
	v_mul_lo_u32 v39, s27, v3
	v_mul_lo_u32 v38, s4, v27
	s_delay_alu instid0(VALU_DEP_1) | instskip(SKIP_1) | instid1(VALU_DEP_2)
	v_add_nc_u32_e32 v28, v28, v38
	v_mul_lo_u32 v38, s4, v3
	v_add_nc_u32_e32 v28, v28, v39
	s_delay_alu instid0(VALU_DEP_2) | instskip(NEXT) | instid1(VALU_DEP_2)
	v_mul_hi_u32 v39, v3, v38
	v_mul_lo_u32 v40, v3, v28
	v_mul_hi_u32 v41, v3, v28
	v_mul_hi_u32 v43, v27, v38
	v_mul_lo_u32 v38, v27, v38
	v_mul_hi_u32 v44, v27, v28
	v_mul_lo_u32 v28, v27, v28
	v_add_co_u32 v39, vcc_lo, v39, v40
	v_add_co_ci_u32_e32 v40, vcc_lo, 0, v41, vcc_lo
	s_delay_alu instid0(VALU_DEP_2) | instskip(NEXT) | instid1(VALU_DEP_2)
	v_add_co_u32 v38, vcc_lo, v39, v38
	v_add_co_ci_u32_e32 v38, vcc_lo, v40, v43, vcc_lo
	v_add_co_ci_u32_e32 v39, vcc_lo, 0, v44, vcc_lo
	v_add_co_u32 v25, vcc_lo, v25, v42
	v_add_co_ci_u32_e32 v26, vcc_lo, v26, v42, vcc_lo
	s_delay_alu instid0(VALU_DEP_4) | instskip(NEXT) | instid1(VALU_DEP_4)
	v_add_co_u32 v28, vcc_lo, v38, v28
	v_add_co_ci_u32_e32 v38, vcc_lo, 0, v39, vcc_lo
	s_delay_alu instid0(VALU_DEP_4) | instskip(NEXT) | instid1(VALU_DEP_3)
	v_xor_b32_e32 v40, v25, v42
	v_add_co_u32 v3, vcc_lo, v3, v28
	s_delay_alu instid0(VALU_DEP_3) | instskip(SKIP_1) | instid1(VALU_DEP_3)
	v_add_co_ci_u32_e32 v41, vcc_lo, v27, v38, vcc_lo
	v_xor_b32_e32 v43, v26, v42
	v_mul_hi_u32 v44, v40, v3
	s_delay_alu instid0(VALU_DEP_3) | instskip(NEXT) | instid1(VALU_DEP_3)
	v_mad_u64_u32 v[25:26], null, v40, v41, 0
	v_mad_u64_u32 v[27:28], null, v43, v3, 0
	;; [unrolled: 1-line block ×3, first 2 shown]
	s_delay_alu instid0(VALU_DEP_3) | instskip(NEXT) | instid1(VALU_DEP_4)
	v_add_co_u32 v3, vcc_lo, v44, v25
	v_add_co_ci_u32_e32 v25, vcc_lo, 0, v26, vcc_lo
	s_delay_alu instid0(VALU_DEP_2) | instskip(NEXT) | instid1(VALU_DEP_2)
	v_add_co_u32 v3, vcc_lo, v3, v27
	v_add_co_ci_u32_e32 v3, vcc_lo, v25, v28, vcc_lo
	v_add_co_ci_u32_e32 v25, vcc_lo, 0, v39, vcc_lo
	s_delay_alu instid0(VALU_DEP_2) | instskip(NEXT) | instid1(VALU_DEP_2)
	v_add_co_u32 v3, vcc_lo, v3, v38
	v_add_co_ci_u32_e32 v27, vcc_lo, 0, v25, vcc_lo
	s_delay_alu instid0(VALU_DEP_2) | instskip(SKIP_1) | instid1(VALU_DEP_3)
	v_mul_lo_u32 v28, s29, v3
	v_mad_u64_u32 v[25:26], null, s28, v3, 0
	v_mul_lo_u32 v27, s28, v27
	s_delay_alu instid0(VALU_DEP_2) | instskip(NEXT) | instid1(VALU_DEP_2)
	v_sub_co_u32 v25, vcc_lo, v40, v25
	v_add3_u32 v26, v26, v27, v28
	v_add_co_u32 v28, s4, v3, 2
	s_delay_alu instid0(VALU_DEP_2) | instskip(NEXT) | instid1(VALU_DEP_1)
	v_sub_nc_u32_e32 v27, v43, v26
	v_subrev_co_ci_u32_e64 v27, s4, s29, v27, vcc_lo
	v_sub_co_u32 v38, s4, v25, s28
	v_sub_co_ci_u32_e32 v26, vcc_lo, v43, v26, vcc_lo
	s_delay_alu instid0(VALU_DEP_3) | instskip(NEXT) | instid1(VALU_DEP_3)
	v_subrev_co_ci_u32_e64 v27, s4, 0, v27, s4
	v_cmp_le_u32_e32 vcc_lo, s28, v38
	v_cndmask_b32_e64 v38, 0, -1, vcc_lo
	s_delay_alu instid0(VALU_DEP_3)
	v_cmp_le_u32_e32 vcc_lo, s29, v27
	v_cndmask_b32_e64 v39, 0, -1, vcc_lo
	v_cmp_le_u32_e32 vcc_lo, s28, v25
	v_cndmask_b32_e64 v25, 0, -1, vcc_lo
	;; [unrolled: 2-line block ×3, first 2 shown]
	v_cmp_eq_u32_e32 vcc_lo, s29, v27
	v_cndmask_b32_e32 v27, v39, v38, vcc_lo
	v_add_co_u32 v38, vcc_lo, v3, 1
	v_cmp_eq_u32_e32 vcc_lo, s29, v26
	v_cndmask_b32_e32 v25, v40, v25, vcc_lo
	s_delay_alu instid0(VALU_DEP_4) | instskip(NEXT) | instid1(VALU_DEP_4)
	v_cmp_ne_u32_e32 vcc_lo, 0, v27
	v_cndmask_b32_e32 v26, v38, v28, vcc_lo
	s_delay_alu instid0(VALU_DEP_3) | instskip(SKIP_1) | instid1(VALU_DEP_3)
	v_cmp_ne_u32_e32 vcc_lo, 0, v25
	v_xor_b32_e32 v25, s26, v42
                                        ; implicit-def: $vgpr38
	v_cndmask_b32_e32 v3, v3, v26, vcc_lo
	s_delay_alu instid0(VALU_DEP_1) | instskip(NEXT) | instid1(VALU_DEP_1)
	v_xor_b32_e32 v3, v3, v25
	v_sub_co_u32 v27, vcc_lo, v3, v25
                                        ; implicit-def: $vgpr25_vgpr26
.LBB9_79:                               ;   in Loop: Header=BB9_69 Depth=5
	s_and_not1_saveexec_b32 s4, s34
	s_cbranch_execz .LBB9_68
; %bb.80:                               ;   in Loop: Header=BB9_69 Depth=5
	v_rcp_iflag_f32_e32 v3, v38
	s_sub_i32 s26, 0, s42
	s_waitcnt_depctr 0xfff
	v_mul_f32_e32 v3, 0x4f7ffffe, v3
	s_delay_alu instid0(VALU_DEP_1) | instskip(NEXT) | instid1(VALU_DEP_1)
	v_cvt_u32_f32_e32 v3, v3
	v_mul_lo_u32 v26, s26, v3
	s_delay_alu instid0(VALU_DEP_1) | instskip(NEXT) | instid1(VALU_DEP_1)
	v_mul_hi_u32 v26, v3, v26
	v_add_nc_u32_e32 v3, v3, v26
	s_delay_alu instid0(VALU_DEP_1) | instskip(NEXT) | instid1(VALU_DEP_1)
	v_mul_hi_u32 v3, v25, v3
	v_mul_lo_u32 v26, v3, s42
	s_delay_alu instid0(VALU_DEP_1) | instskip(SKIP_1) | instid1(VALU_DEP_2)
	v_sub_nc_u32_e32 v25, v25, v26
	v_add_nc_u32_e32 v26, 1, v3
	v_subrev_nc_u32_e32 v27, s42, v25
	v_cmp_le_u32_e32 vcc_lo, s42, v25
	s_delay_alu instid0(VALU_DEP_2) | instskip(NEXT) | instid1(VALU_DEP_4)
	v_cndmask_b32_e32 v25, v25, v27, vcc_lo
	v_cndmask_b32_e32 v3, v3, v26, vcc_lo
	s_delay_alu instid0(VALU_DEP_2) | instskip(NEXT) | instid1(VALU_DEP_2)
	v_cmp_le_u32_e32 vcc_lo, s42, v25
	v_add_nc_u32_e32 v26, 1, v3
	s_delay_alu instid0(VALU_DEP_1)
	v_cndmask_b32_e32 v27, v3, v26, vcc_lo
	s_branch .LBB9_68
.LBB9_81:                               ;   in Loop: Header=BB9_42 Depth=3
                                        ; implicit-def: $vgpr15_vgpr16
	v_cvt_f32_u32_e32 v0, s12
	s_branch .LBB9_44
.LBB9_82:                               ;   in Loop: Header=BB9_42 Depth=3
                                        ; implicit-def: $sgpr26_sgpr27
	s_branch .LBB9_47
.LBB9_83:                               ;   in Loop: Header=BB9_42 Depth=3
                                        ; implicit-def: $vgpr16_vgpr17
	s_branch .LBB9_50
.LBB9_84:
	s_nop 0
	s_sendmsg sendmsg(MSG_DEALLOC_VGPRS)
	s_endpgm
.LBB9_85:
                                        ; implicit-def: $sgpr20_sgpr21
	v_cvt_f32_u32_e32 v1, s10
	s_branch .LBB9_2
.LBB9_86:
                                        ; implicit-def: $sgpr16_sgpr17
	s_branch .LBB9_5
.LBB9_87:
                                        ; implicit-def: $vgpr3_vgpr4
	s_load_b32 s2, s[0:1], 0x3c
	s_branch .LBB9_8
	.section	.rodata,"a",@progbits
	.p2align	6, 0x0
	.amdhsa_kernel _ZN2at6native12_GLOBAL__N_124adaptiveaveragegradinputIffEEvPT_PKS3_iiiiiil
		.amdhsa_group_segment_fixed_size 0
		.amdhsa_private_segment_fixed_size 0
		.amdhsa_kernarg_size 304
		.amdhsa_user_sgpr_count 14
		.amdhsa_user_sgpr_dispatch_ptr 0
		.amdhsa_user_sgpr_queue_ptr 0
		.amdhsa_user_sgpr_kernarg_segment_ptr 1
		.amdhsa_user_sgpr_dispatch_id 0
		.amdhsa_user_sgpr_private_segment_size 0
		.amdhsa_wavefront_size32 1
		.amdhsa_uses_dynamic_stack 0
		.amdhsa_enable_private_segment 0
		.amdhsa_system_sgpr_workgroup_id_x 1
		.amdhsa_system_sgpr_workgroup_id_y 1
		.amdhsa_system_sgpr_workgroup_id_z 0
		.amdhsa_system_sgpr_workgroup_info 0
		.amdhsa_system_vgpr_workitem_id 1
		.amdhsa_next_free_vgpr 45
		.amdhsa_next_free_sgpr 56
		.amdhsa_reserve_vcc 1
		.amdhsa_float_round_mode_32 0
		.amdhsa_float_round_mode_16_64 0
		.amdhsa_float_denorm_mode_32 3
		.amdhsa_float_denorm_mode_16_64 3
		.amdhsa_dx10_clamp 1
		.amdhsa_ieee_mode 1
		.amdhsa_fp16_overflow 0
		.amdhsa_workgroup_processor_mode 1
		.amdhsa_memory_ordered 1
		.amdhsa_forward_progress 0
		.amdhsa_shared_vgpr_count 0
		.amdhsa_exception_fp_ieee_invalid_op 0
		.amdhsa_exception_fp_denorm_src 0
		.amdhsa_exception_fp_ieee_div_zero 0
		.amdhsa_exception_fp_ieee_overflow 0
		.amdhsa_exception_fp_ieee_underflow 0
		.amdhsa_exception_fp_ieee_inexact 0
		.amdhsa_exception_int_div_zero 0
	.end_amdhsa_kernel
	.section	.text._ZN2at6native12_GLOBAL__N_124adaptiveaveragegradinputIffEEvPT_PKS3_iiiiiil,"axG",@progbits,_ZN2at6native12_GLOBAL__N_124adaptiveaveragegradinputIffEEvPT_PKS3_iiiiiil,comdat
.Lfunc_end9:
	.size	_ZN2at6native12_GLOBAL__N_124adaptiveaveragegradinputIffEEvPT_PKS3_iiiiiil, .Lfunc_end9-_ZN2at6native12_GLOBAL__N_124adaptiveaveragegradinputIffEEvPT_PKS3_iiiiiil
                                        ; -- End function
	.section	.AMDGPU.csdata,"",@progbits
; Kernel info:
; codeLenInByte = 17404
; NumSgprs: 58
; NumVgprs: 45
; ScratchSize: 0
; MemoryBound: 0
; FloatMode: 240
; IeeeMode: 1
; LDSByteSize: 0 bytes/workgroup (compile time only)
; SGPRBlocks: 7
; VGPRBlocks: 5
; NumSGPRsForWavesPerEU: 58
; NumVGPRsForWavesPerEU: 45
; Occupancy: 16
; WaveLimiterHint : 0
; COMPUTE_PGM_RSRC2:SCRATCH_EN: 0
; COMPUTE_PGM_RSRC2:USER_SGPR: 14
; COMPUTE_PGM_RSRC2:TRAP_HANDLER: 0
; COMPUTE_PGM_RSRC2:TGID_X_EN: 1
; COMPUTE_PGM_RSRC2:TGID_Y_EN: 1
; COMPUTE_PGM_RSRC2:TGID_Z_EN: 0
; COMPUTE_PGM_RSRC2:TIDIG_COMP_CNT: 1
	.section	.text._ZN2at6native12_GLOBAL__N_124adaptiveaveragegradinputIN3c104HalfEfEEvPT_PKS5_iiiiiil,"axG",@progbits,_ZN2at6native12_GLOBAL__N_124adaptiveaveragegradinputIN3c104HalfEfEEvPT_PKS5_iiiiiil,comdat
	.globl	_ZN2at6native12_GLOBAL__N_124adaptiveaveragegradinputIN3c104HalfEfEEvPT_PKS5_iiiiiil ; -- Begin function _ZN2at6native12_GLOBAL__N_124adaptiveaveragegradinputIN3c104HalfEfEEvPT_PKS5_iiiiiil
	.p2align	8
	.type	_ZN2at6native12_GLOBAL__N_124adaptiveaveragegradinputIN3c104HalfEfEEvPT_PKS5_iiiiiil,@function
_ZN2at6native12_GLOBAL__N_124adaptiveaveragegradinputIN3c104HalfEfEEvPT_PKS5_iiiiiil: ; @_ZN2at6native12_GLOBAL__N_124adaptiveaveragegradinputIN3c104HalfEfEEvPT_PKS5_iiiiiil
; %bb.0:
	s_load_b256 s[4:11], s[0:1], 0x10
	s_waitcnt lgkmcnt(0)
	s_add_u32 s18, s14, s10
	s_addc_u32 s19, 0, s11
	s_ashr_i32 s11, s4, 31
	s_mov_b32 s10, s4
	s_delay_alu instid0(SALU_CYCLE_1) | instskip(SKIP_1) | instid1(SALU_CYCLE_1)
	s_or_b64 s[2:3], s[18:19], s[10:11]
	s_mov_b32 s2, 0
	s_cmp_lg_u64 s[2:3], 0
	s_cbranch_scc0 .LBB10_85
; %bb.1:
	s_add_u32 s16, s10, s11
	s_mov_b32 s12, s11
	s_mov_b32 s13, s11
	s_addc_u32 s17, s11, s11
	s_delay_alu instid0(SALU_CYCLE_1) | instskip(NEXT) | instid1(SALU_CYCLE_1)
	s_xor_b64 s[16:17], s[16:17], s[12:13]
	v_cvt_f32_u32_e32 v1, s16
	v_cvt_f32_u32_e32 v2, s17
	s_sub_u32 s14, 0, s16
	s_subb_u32 s20, 0, s17
	s_delay_alu instid0(VALU_DEP_1) | instskip(NEXT) | instid1(VALU_DEP_1)
	v_fmamk_f32 v1, v2, 0x4f800000, v1
	v_rcp_f32_e32 v1, v1
	s_waitcnt_depctr 0xfff
	v_mul_f32_e32 v1, 0x5f7ffffc, v1
	s_delay_alu instid0(VALU_DEP_1) | instskip(NEXT) | instid1(VALU_DEP_1)
	v_mul_f32_e32 v2, 0x2f800000, v1
	v_trunc_f32_e32 v2, v2
	s_delay_alu instid0(VALU_DEP_1) | instskip(SKIP_1) | instid1(VALU_DEP_2)
	v_fmamk_f32 v1, v2, 0xcf800000, v1
	v_cvt_u32_f32_e32 v2, v2
	v_cvt_u32_f32_e32 v1, v1
	s_delay_alu instid0(VALU_DEP_2) | instskip(NEXT) | instid1(VALU_DEP_2)
	v_readfirstlane_b32 s3, v2
	v_readfirstlane_b32 s4, v1
	s_delay_alu instid0(VALU_DEP_2) | instskip(NEXT) | instid1(VALU_DEP_1)
	s_mul_i32 s21, s14, s3
	s_mul_hi_u32 s23, s14, s4
	s_mul_i32 s22, s20, s4
	s_add_i32 s21, s23, s21
	s_mul_i32 s24, s14, s4
	s_add_i32 s21, s21, s22
	s_mul_hi_u32 s23, s4, s24
	s_mul_hi_u32 s25, s3, s24
	s_mul_i32 s22, s3, s24
	s_mul_hi_u32 s24, s4, s21
	s_mul_i32 s4, s4, s21
	s_mul_hi_u32 s26, s3, s21
	s_add_u32 s4, s23, s4
	s_addc_u32 s23, 0, s24
	s_add_u32 s4, s4, s22
	s_mul_i32 s21, s3, s21
	s_addc_u32 s4, s23, s25
	s_addc_u32 s22, s26, 0
	s_add_u32 s4, s4, s21
	s_addc_u32 s21, 0, s22
	v_add_co_u32 v1, s4, v1, s4
	s_delay_alu instid0(VALU_DEP_1) | instskip(SKIP_1) | instid1(VALU_DEP_1)
	s_cmp_lg_u32 s4, 0
	s_addc_u32 s3, s3, s21
	v_readfirstlane_b32 s4, v1
	s_mul_i32 s21, s14, s3
	s_delay_alu instid0(VALU_DEP_1)
	s_mul_hi_u32 s22, s14, s4
	s_mul_i32 s20, s20, s4
	s_add_i32 s21, s22, s21
	s_mul_i32 s14, s14, s4
	s_add_i32 s21, s21, s20
	s_mul_hi_u32 s22, s3, s14
	s_mul_i32 s23, s3, s14
	s_mul_hi_u32 s14, s4, s14
	s_mul_hi_u32 s24, s4, s21
	s_mul_i32 s4, s4, s21
	s_mul_hi_u32 s20, s3, s21
	s_add_u32 s4, s14, s4
	s_addc_u32 s14, 0, s24
	s_add_u32 s4, s4, s23
	s_mul_i32 s21, s3, s21
	s_addc_u32 s4, s14, s22
	s_addc_u32 s14, s20, 0
	s_add_u32 s4, s4, s21
	s_addc_u32 s14, 0, s14
	v_add_co_u32 v1, s4, v1, s4
	s_delay_alu instid0(VALU_DEP_1) | instskip(SKIP_2) | instid1(VALU_DEP_1)
	s_cmp_lg_u32 s4, 0
	s_addc_u32 s3, s3, s14
	s_ashr_i32 s20, s19, 31
	v_readfirstlane_b32 s4, v1
	s_add_u32 s22, s18, s20
	s_mov_b32 s21, s20
	s_addc_u32 s23, s19, s20
	s_delay_alu instid0(SALU_CYCLE_1) | instskip(NEXT) | instid1(SALU_CYCLE_1)
	s_xor_b64 s[22:23], s[22:23], s[20:21]
	s_mul_i32 s24, s22, s3
	s_mul_hi_u32 s25, s22, s4
	s_mul_hi_u32 s14, s22, s3
	;; [unrolled: 1-line block ×3, first 2 shown]
	s_mul_i32 s4, s23, s4
	s_add_u32 s24, s25, s24
	s_addc_u32 s14, 0, s14
	s_mul_hi_u32 s26, s23, s3
	s_add_u32 s4, s24, s4
	s_mul_i32 s3, s23, s3
	s_addc_u32 s4, s14, s27
	s_addc_u32 s14, s26, 0
	s_add_u32 s3, s4, s3
	s_addc_u32 s4, 0, s14
	s_mul_i32 s26, s16, s3
	s_mul_hi_u32 s14, s16, s3
	s_mul_i32 s25, s16, s4
	v_sub_co_u32 v1, s22, s22, s26
	s_mul_i32 s24, s17, s3
	s_add_i32 s14, s14, s25
	s_delay_alu instid0(SALU_CYCLE_1) | instskip(NEXT) | instid1(VALU_DEP_1)
	s_add_i32 s14, s14, s24
	v_sub_co_u32 v2, s25, v1, s16
	s_sub_i32 s24, s23, s14
	s_cmp_lg_u32 s22, 0
	s_subb_u32 s24, s24, s17
	s_cmp_lg_u32 s25, 0
	v_readfirstlane_b32 s25, v2
	s_subb_u32 s24, s24, 0
	s_delay_alu instid0(SALU_CYCLE_1) | instskip(SKIP_1) | instid1(VALU_DEP_1)
	s_cmp_ge_u32 s24, s17
	s_cselect_b32 s26, -1, 0
	s_cmp_ge_u32 s25, s16
	s_cselect_b32 s25, -1, 0
	s_cmp_eq_u32 s24, s17
	s_cselect_b32 s24, s25, s26
	s_add_u32 s25, s3, 1
	s_addc_u32 s26, s4, 0
	s_add_u32 s27, s3, 2
	s_addc_u32 s28, s4, 0
	s_cmp_lg_u32 s24, 0
	s_cselect_b32 s24, s27, s25
	s_cselect_b32 s25, s28, s26
	s_cmp_lg_u32 s22, 0
	v_readfirstlane_b32 s22, v1
	s_subb_u32 s14, s23, s14
	s_delay_alu instid0(SALU_CYCLE_1) | instskip(SKIP_1) | instid1(VALU_DEP_1)
	s_cmp_ge_u32 s14, s17
	s_cselect_b32 s23, -1, 0
	s_cmp_ge_u32 s22, s16
	s_cselect_b32 s16, -1, 0
	s_cmp_eq_u32 s14, s17
	s_cselect_b32 s14, s16, s23
	s_delay_alu instid0(SALU_CYCLE_1) | instskip(SKIP_3) | instid1(SALU_CYCLE_1)
	s_cmp_lg_u32 s14, 0
	s_cselect_b32 s17, s25, s4
	s_cselect_b32 s16, s24, s3
	s_xor_b64 s[12:13], s[20:21], s[12:13]
	s_xor_b64 s[16:17], s[16:17], s[12:13]
	s_delay_alu instid0(SALU_CYCLE_1)
	s_sub_u32 s20, s16, s12
	s_subb_u32 s21, s17, s13
	v_cvt_f32_u32_e32 v1, s10
	s_and_not1_b32 vcc_lo, exec_lo, s2
	s_cbranch_vccnz .LBB10_3
.LBB10_2:
	s_delay_alu instid0(VALU_DEP_1) | instskip(SKIP_4) | instid1(VALU_DEP_1)
	v_rcp_iflag_f32_e32 v2, v1
	s_sub_i32 s3, 0, s10
	s_mov_b32 s21, 0
	s_waitcnt_depctr 0xfff
	v_mul_f32_e32 v2, 0x4f7ffffe, v2
	v_cvt_u32_f32_e32 v2, v2
	s_delay_alu instid0(VALU_DEP_1) | instskip(NEXT) | instid1(VALU_DEP_1)
	v_readfirstlane_b32 s2, v2
	s_mul_i32 s3, s3, s2
	s_delay_alu instid0(SALU_CYCLE_1) | instskip(NEXT) | instid1(SALU_CYCLE_1)
	s_mul_hi_u32 s3, s2, s3
	s_add_i32 s2, s2, s3
	s_delay_alu instid0(SALU_CYCLE_1) | instskip(NEXT) | instid1(SALU_CYCLE_1)
	s_mul_hi_u32 s2, s18, s2
	s_mul_i32 s3, s2, s10
	s_add_i32 s4, s2, 1
	s_sub_i32 s3, s18, s3
	s_delay_alu instid0(SALU_CYCLE_1)
	s_sub_i32 s12, s3, s10
	s_cmp_ge_u32 s3, s10
	s_cselect_b32 s2, s4, s2
	s_cselect_b32 s3, s12, s3
	s_add_i32 s4, s2, 1
	s_cmp_ge_u32 s3, s10
	s_cselect_b32 s20, s4, s2
.LBB10_3:
	s_delay_alu instid0(SALU_CYCLE_1) | instskip(SKIP_4) | instid1(SALU_CYCLE_1)
	s_mul_i32 s2, s20, s11
	s_mul_hi_u32 s3, s20, s10
	s_mul_i32 s4, s20, s10
	s_add_i32 s2, s3, s2
	s_mul_i32 s3, s21, s10
	s_add_i32 s2, s2, s3
	s_sub_u32 s4, s18, s4
	s_subb_u32 s2, s19, s2
	s_ashr_i32 s13, s7, 31
	s_mul_hi_u32 s12, s4, s7
	s_mul_i32 s3, s4, s13
	s_mul_i32 s2, s2, s7
	s_add_i32 s3, s12, s3
	s_mov_b32 s12, s7
	s_add_i32 s3, s3, s2
	s_mul_i32 s2, s4, s7
	s_delay_alu instid0(SALU_CYCLE_1) | instskip(SKIP_1) | instid1(SALU_CYCLE_1)
	s_or_b64 s[22:23], s[2:3], s[10:11]
	s_mov_b32 s22, 0
	s_cmp_lg_u64 s[22:23], 0
	s_cbranch_scc0 .LBB10_86
; %bb.4:
	s_add_u32 s24, s10, s11
	s_mov_b32 s16, s11
	s_mov_b32 s17, s11
	s_addc_u32 s25, s11, s11
	s_delay_alu instid0(SALU_CYCLE_1) | instskip(NEXT) | instid1(SALU_CYCLE_1)
	s_xor_b64 s[24:25], s[24:25], s[16:17]
	v_cvt_f32_u32_e32 v2, s24
	v_cvt_f32_u32_e32 v3, s25
	s_sub_u32 s21, 0, s24
	s_subb_u32 s23, 0, s25
	s_delay_alu instid0(VALU_DEP_1) | instskip(NEXT) | instid1(VALU_DEP_1)
	v_fmamk_f32 v2, v3, 0x4f800000, v2
	v_rcp_f32_e32 v2, v2
	s_waitcnt_depctr 0xfff
	v_mul_f32_e32 v2, 0x5f7ffffc, v2
	s_delay_alu instid0(VALU_DEP_1) | instskip(NEXT) | instid1(VALU_DEP_1)
	v_mul_f32_e32 v3, 0x2f800000, v2
	v_trunc_f32_e32 v3, v3
	s_delay_alu instid0(VALU_DEP_1) | instskip(SKIP_1) | instid1(VALU_DEP_2)
	v_fmamk_f32 v2, v3, 0xcf800000, v2
	v_cvt_u32_f32_e32 v3, v3
	v_cvt_u32_f32_e32 v2, v2
	s_delay_alu instid0(VALU_DEP_2) | instskip(NEXT) | instid1(VALU_DEP_2)
	v_readfirstlane_b32 s4, v3
	v_readfirstlane_b32 s14, v2
	s_delay_alu instid0(VALU_DEP_2) | instskip(NEXT) | instid1(VALU_DEP_1)
	s_mul_i32 s26, s21, s4
	s_mul_hi_u32 s28, s21, s14
	s_mul_i32 s27, s23, s14
	s_add_i32 s26, s28, s26
	s_mul_i32 s29, s21, s14
	s_add_i32 s26, s26, s27
	s_mul_hi_u32 s28, s14, s29
	s_mul_hi_u32 s30, s4, s29
	s_mul_i32 s27, s4, s29
	s_mul_hi_u32 s29, s14, s26
	s_mul_i32 s14, s14, s26
	s_mul_hi_u32 s31, s4, s26
	s_add_u32 s14, s28, s14
	s_addc_u32 s28, 0, s29
	s_add_u32 s14, s14, s27
	s_mul_i32 s26, s4, s26
	s_addc_u32 s14, s28, s30
	s_addc_u32 s27, s31, 0
	s_add_u32 s14, s14, s26
	s_addc_u32 s26, 0, s27
	v_add_co_u32 v2, s14, v2, s14
	s_delay_alu instid0(VALU_DEP_1) | instskip(SKIP_1) | instid1(VALU_DEP_1)
	s_cmp_lg_u32 s14, 0
	s_addc_u32 s4, s4, s26
	v_readfirstlane_b32 s14, v2
	s_mul_i32 s26, s21, s4
	s_delay_alu instid0(VALU_DEP_1)
	s_mul_hi_u32 s27, s21, s14
	s_mul_i32 s23, s23, s14
	s_add_i32 s26, s27, s26
	s_mul_i32 s21, s21, s14
	s_add_i32 s26, s26, s23
	s_mul_hi_u32 s27, s4, s21
	s_mul_i32 s28, s4, s21
	s_mul_hi_u32 s21, s14, s21
	s_mul_hi_u32 s29, s14, s26
	s_mul_i32 s14, s14, s26
	s_mul_hi_u32 s23, s4, s26
	s_add_u32 s14, s21, s14
	s_addc_u32 s21, 0, s29
	s_add_u32 s14, s14, s28
	s_mul_i32 s26, s4, s26
	s_addc_u32 s14, s21, s27
	s_addc_u32 s21, s23, 0
	s_add_u32 s14, s14, s26
	s_addc_u32 s21, 0, s21
	v_add_co_u32 v2, s14, v2, s14
	s_delay_alu instid0(VALU_DEP_1) | instskip(SKIP_2) | instid1(VALU_DEP_1)
	s_cmp_lg_u32 s14, 0
	s_addc_u32 s4, s4, s21
	s_ashr_i32 s26, s3, 31
	v_readfirstlane_b32 s14, v2
	s_add_u32 s28, s2, s26
	s_mov_b32 s27, s26
	s_addc_u32 s29, s3, s26
	s_delay_alu instid0(SALU_CYCLE_1) | instskip(NEXT) | instid1(SALU_CYCLE_1)
	s_xor_b64 s[28:29], s[28:29], s[26:27]
	s_mul_i32 s23, s28, s4
	s_mul_hi_u32 s30, s28, s14
	s_mul_hi_u32 s21, s28, s4
	;; [unrolled: 1-line block ×3, first 2 shown]
	s_mul_i32 s14, s29, s14
	s_add_u32 s23, s30, s23
	s_addc_u32 s21, 0, s21
	s_mul_hi_u32 s31, s29, s4
	s_add_u32 s14, s23, s14
	s_mul_i32 s4, s29, s4
	s_addc_u32 s14, s21, s33
	s_addc_u32 s21, s31, 0
	s_add_u32 s4, s14, s4
	s_addc_u32 s14, 0, s21
	s_mul_i32 s31, s24, s4
	s_mul_hi_u32 s21, s24, s4
	s_mul_i32 s30, s24, s14
	v_sub_co_u32 v2, s28, s28, s31
	s_mul_i32 s23, s25, s4
	s_add_i32 s21, s21, s30
	s_delay_alu instid0(SALU_CYCLE_1) | instskip(NEXT) | instid1(VALU_DEP_1)
	s_add_i32 s21, s21, s23
	v_sub_co_u32 v3, s30, v2, s24
	s_sub_i32 s23, s29, s21
	s_cmp_lg_u32 s28, 0
	s_subb_u32 s23, s23, s25
	s_cmp_lg_u32 s30, 0
	v_readfirstlane_b32 s30, v3
	s_subb_u32 s23, s23, 0
	s_delay_alu instid0(SALU_CYCLE_1) | instskip(SKIP_1) | instid1(VALU_DEP_1)
	s_cmp_ge_u32 s23, s25
	s_cselect_b32 s31, -1, 0
	s_cmp_ge_u32 s30, s24
	s_cselect_b32 s30, -1, 0
	s_cmp_eq_u32 s23, s25
	s_cselect_b32 s23, s30, s31
	s_add_u32 s30, s4, 1
	s_addc_u32 s31, s14, 0
	s_add_u32 s33, s4, 2
	s_addc_u32 s34, s14, 0
	s_cmp_lg_u32 s23, 0
	s_cselect_b32 s23, s33, s30
	s_cselect_b32 s30, s34, s31
	s_cmp_lg_u32 s28, 0
	v_readfirstlane_b32 s28, v2
	s_subb_u32 s21, s29, s21
	s_delay_alu instid0(SALU_CYCLE_1) | instskip(SKIP_1) | instid1(VALU_DEP_1)
	s_cmp_ge_u32 s21, s25
	s_cselect_b32 s29, -1, 0
	s_cmp_ge_u32 s28, s24
	s_cselect_b32 s24, -1, 0
	s_cmp_eq_u32 s21, s25
	s_cselect_b32 s21, s24, s29
	s_delay_alu instid0(SALU_CYCLE_1) | instskip(SKIP_3) | instid1(SALU_CYCLE_1)
	s_cmp_lg_u32 s21, 0
	s_cselect_b32 s25, s30, s14
	s_cselect_b32 s24, s23, s4
	s_xor_b64 s[16:17], s[26:27], s[16:17]
	s_xor_b64 s[24:25], s[24:25], s[16:17]
	s_delay_alu instid0(SALU_CYCLE_1)
	s_sub_u32 s16, s24, s16
	s_and_not1_b32 vcc_lo, exec_lo, s22
	s_cbranch_vccnz .LBB10_6
.LBB10_5:
	v_rcp_iflag_f32_e32 v2, v1
	s_sub_i32 s14, 0, s10
	s_waitcnt_depctr 0xfff
	v_mul_f32_e32 v2, 0x4f7ffffe, v2
	s_delay_alu instid0(VALU_DEP_1) | instskip(NEXT) | instid1(VALU_DEP_1)
	v_cvt_u32_f32_e32 v2, v2
	v_readfirstlane_b32 s4, v2
	s_delay_alu instid0(VALU_DEP_1) | instskip(NEXT) | instid1(SALU_CYCLE_1)
	s_mul_i32 s14, s14, s4
	s_mul_hi_u32 s14, s4, s14
	s_delay_alu instid0(SALU_CYCLE_1) | instskip(NEXT) | instid1(SALU_CYCLE_1)
	s_add_i32 s4, s4, s14
	s_mul_hi_u32 s4, s2, s4
	s_delay_alu instid0(SALU_CYCLE_1) | instskip(SKIP_2) | instid1(SALU_CYCLE_1)
	s_mul_i32 s14, s4, s10
	s_add_i32 s16, s4, 1
	s_sub_i32 s14, s2, s14
	s_sub_i32 s17, s14, s10
	s_cmp_ge_u32 s14, s10
	s_cselect_b32 s4, s16, s4
	s_cselect_b32 s14, s17, s14
	s_add_i32 s16, s4, 1
	s_cmp_ge_u32 s14, s10
	s_cselect_b32 s16, s16, s4
.LBB10_6:
	s_add_u32 s2, s2, s12
	s_addc_u32 s3, s3, s13
	s_add_u32 s22, s2, -1
	s_addc_u32 s23, s3, -1
	s_delay_alu instid0(SALU_CYCLE_1) | instskip(SKIP_1) | instid1(SALU_CYCLE_1)
	s_or_b64 s[24:25], s[22:23], s[10:11]
	s_mov_b32 s24, 0
	s_cmp_lg_u64 s[24:25], 0
	s_cbranch_scc0 .LBB10_87
; %bb.7:
	s_add_u32 s2, s10, s11
	s_mov_b32 s26, s11
	s_mov_b32 s27, s11
	s_addc_u32 s3, s11, s11
	s_delay_alu instid0(SALU_CYCLE_1) | instskip(NEXT) | instid1(SALU_CYCLE_1)
	s_xor_b64 s[2:3], s[2:3], s[26:27]
	v_cvt_f32_u32_e32 v2, s2
	v_cvt_f32_u32_e32 v3, s3
	s_sub_u32 s17, 0, s2
	s_subb_u32 s21, 0, s3
	s_delay_alu instid0(VALU_DEP_1) | instskip(NEXT) | instid1(VALU_DEP_1)
	v_fmamk_f32 v2, v3, 0x4f800000, v2
	v_rcp_f32_e32 v2, v2
	s_waitcnt_depctr 0xfff
	v_mul_f32_e32 v2, 0x5f7ffffc, v2
	s_delay_alu instid0(VALU_DEP_1) | instskip(NEXT) | instid1(VALU_DEP_1)
	v_mul_f32_e32 v3, 0x2f800000, v2
	v_trunc_f32_e32 v3, v3
	s_delay_alu instid0(VALU_DEP_1) | instskip(SKIP_1) | instid1(VALU_DEP_2)
	v_fmamk_f32 v2, v3, 0xcf800000, v2
	v_cvt_u32_f32_e32 v3, v3
	v_cvt_u32_f32_e32 v2, v2
	s_delay_alu instid0(VALU_DEP_2) | instskip(NEXT) | instid1(VALU_DEP_2)
	v_readfirstlane_b32 s4, v3
	v_readfirstlane_b32 s14, v2
	s_delay_alu instid0(VALU_DEP_2) | instskip(NEXT) | instid1(VALU_DEP_1)
	s_mul_i32 s25, s17, s4
	s_mul_hi_u32 s29, s17, s14
	s_mul_i32 s28, s21, s14
	s_add_i32 s25, s29, s25
	s_mul_i32 s30, s17, s14
	s_add_i32 s25, s25, s28
	s_mul_hi_u32 s29, s14, s30
	s_mul_hi_u32 s31, s4, s30
	s_mul_i32 s28, s4, s30
	s_mul_hi_u32 s30, s14, s25
	s_mul_i32 s14, s14, s25
	s_mul_hi_u32 s33, s4, s25
	s_add_u32 s14, s29, s14
	s_addc_u32 s29, 0, s30
	s_add_u32 s14, s14, s28
	s_mul_i32 s25, s4, s25
	s_addc_u32 s14, s29, s31
	s_addc_u32 s28, s33, 0
	s_add_u32 s14, s14, s25
	s_addc_u32 s25, 0, s28
	v_add_co_u32 v2, s14, v2, s14
	s_delay_alu instid0(VALU_DEP_1) | instskip(SKIP_1) | instid1(VALU_DEP_1)
	s_cmp_lg_u32 s14, 0
	s_addc_u32 s4, s4, s25
	v_readfirstlane_b32 s14, v2
	s_mul_i32 s25, s17, s4
	s_delay_alu instid0(VALU_DEP_1)
	s_mul_hi_u32 s28, s17, s14
	s_mul_i32 s21, s21, s14
	s_add_i32 s25, s28, s25
	s_mul_i32 s17, s17, s14
	s_add_i32 s25, s25, s21
	s_mul_hi_u32 s28, s4, s17
	s_mul_i32 s29, s4, s17
	s_mul_hi_u32 s17, s14, s17
	s_mul_hi_u32 s30, s14, s25
	s_mul_i32 s14, s14, s25
	s_mul_hi_u32 s21, s4, s25
	s_add_u32 s14, s17, s14
	s_addc_u32 s17, 0, s30
	s_add_u32 s14, s14, s29
	s_mul_i32 s25, s4, s25
	s_addc_u32 s14, s17, s28
	s_addc_u32 s17, s21, 0
	s_add_u32 s14, s14, s25
	s_addc_u32 s17, 0, s17
	v_add_co_u32 v2, s14, v2, s14
	s_delay_alu instid0(VALU_DEP_1) | instskip(SKIP_2) | instid1(VALU_DEP_1)
	s_cmp_lg_u32 s14, 0
	s_addc_u32 s4, s4, s17
	s_ashr_i32 s28, s23, 31
	v_readfirstlane_b32 s14, v2
	s_add_u32 s30, s22, s28
	s_mov_b32 s29, s28
	s_addc_u32 s31, s23, s28
	s_delay_alu instid0(SALU_CYCLE_1) | instskip(NEXT) | instid1(SALU_CYCLE_1)
	s_xor_b64 s[30:31], s[30:31], s[28:29]
	s_mul_i32 s21, s30, s4
	s_mul_hi_u32 s23, s30, s14
	s_mul_hi_u32 s17, s30, s4
	;; [unrolled: 1-line block ×3, first 2 shown]
	s_mul_i32 s14, s31, s14
	s_add_u32 s21, s23, s21
	s_addc_u32 s17, 0, s17
	s_mul_hi_u32 s25, s31, s4
	s_add_u32 s14, s21, s14
	s_mul_i32 s4, s31, s4
	s_addc_u32 s14, s17, s33
	s_addc_u32 s17, s25, 0
	s_add_u32 s4, s14, s4
	s_addc_u32 s14, 0, s17
	s_mul_hi_u32 s17, s2, s4
	s_mul_i32 s14, s2, s14
	s_mul_i32 s23, s2, s4
	;; [unrolled: 1-line block ×3, first 2 shown]
	s_add_i32 s14, s17, s14
	v_sub_co_u32 v2, s17, s30, s23
	s_add_i32 s14, s14, s21
	s_delay_alu instid0(SALU_CYCLE_1) | instskip(SKIP_1) | instid1(VALU_DEP_1)
	s_sub_i32 s21, s31, s14
	s_cmp_lg_u32 s17, 0
	v_sub_co_u32 v3, s23, v2, s2
	s_subb_u32 s21, s21, s3
	s_cmp_lg_u32 s23, 0
	s_subb_u32 s21, s21, 0
	s_delay_alu instid0(VALU_DEP_1)
	v_cmp_le_u32_e32 vcc_lo, s2, v3
	s_cmp_ge_u32 s21, s3
	v_cmp_le_u32_e64 s2, s2, v2
	s_cselect_b32 s23, -1, 0
	s_cmp_eq_u32 s21, s3
	v_cndmask_b32_e64 v3, 0, -1, vcc_lo
	s_cselect_b32 vcc_lo, -1, 0
	s_add_u32 s21, s4, 1
	s_add_u32 s25, s4, 2
	s_cmp_lg_u32 s17, 0
	v_mov_b32_e32 v4, s25
	v_cndmask_b32_e64 v2, 0, -1, s2
	s_subb_u32 s2, s31, s14
	v_cndmask_b32_e32 v3, s23, v3, vcc_lo
	s_cmp_ge_u32 s2, s3
	s_cselect_b32 s14, -1, 0
	s_cmp_eq_u32 s2, s3
	s_cselect_b32 vcc_lo, -1, 0
	s_xor_b64 s[2:3], s[28:29], s[26:27]
	v_cndmask_b32_e32 v2, s14, v2, vcc_lo
	v_cmp_ne_u32_e32 vcc_lo, 0, v3
	v_cndmask_b32_e32 v3, s21, v4, vcc_lo
	s_delay_alu instid0(VALU_DEP_3) | instskip(NEXT) | instid1(VALU_DEP_2)
	v_cmp_ne_u32_e32 vcc_lo, 0, v2
	v_cndmask_b32_e32 v2, s4, v3, vcc_lo
	s_delay_alu instid0(VALU_DEP_1) | instskip(NEXT) | instid1(VALU_DEP_1)
	v_xor_b32_e32 v2, s2, v2
	v_sub_co_u32 v3, vcc_lo, v2, s2
	s_load_b32 s2, s[0:1], 0x3c
	s_and_not1_b32 vcc_lo, exec_lo, s24
	s_cbranch_vccnz .LBB10_9
.LBB10_8:
	v_rcp_iflag_f32_e32 v1, v1
	s_sub_i32 s3, 0, s10
	s_waitcnt_depctr 0xfff
	v_mul_f32_e32 v1, 0x4f7ffffe, v1
	s_delay_alu instid0(VALU_DEP_1) | instskip(NEXT) | instid1(VALU_DEP_1)
	v_cvt_u32_f32_e32 v1, v1
	v_mul_lo_u32 v2, s3, v1
	s_delay_alu instid0(VALU_DEP_1) | instskip(NEXT) | instid1(VALU_DEP_1)
	v_mul_hi_u32 v2, v1, v2
	v_add_nc_u32_e32 v1, v1, v2
	s_delay_alu instid0(VALU_DEP_1) | instskip(NEXT) | instid1(VALU_DEP_1)
	v_mul_hi_u32 v1, s22, v1
	v_mul_lo_u32 v2, v1, s10
	v_add_nc_u32_e32 v3, 1, v1
	s_delay_alu instid0(VALU_DEP_2) | instskip(NEXT) | instid1(VALU_DEP_1)
	v_sub_nc_u32_e32 v2, s22, v2
	v_subrev_nc_u32_e32 v4, s10, v2
	v_cmp_le_u32_e32 vcc_lo, s10, v2
	s_delay_alu instid0(VALU_DEP_2) | instskip(NEXT) | instid1(VALU_DEP_1)
	v_dual_cndmask_b32 v2, v2, v4 :: v_dual_cndmask_b32 v1, v1, v3
	v_cmp_le_u32_e32 vcc_lo, s10, v2
	s_delay_alu instid0(VALU_DEP_2) | instskip(NEXT) | instid1(VALU_DEP_1)
	v_add_nc_u32_e32 v3, 1, v1
	v_cndmask_b32_e32 v3, v1, v3, vcc_lo
.LBB10_9:
	v_bfe_u32 v4, v0, 10, 10
	s_waitcnt lgkmcnt(0)
	s_lshr_b32 s3, s2, 16
	s_mov_b32 s4, exec_lo
	s_delay_alu instid0(VALU_DEP_1) | instskip(NEXT) | instid1(VALU_DEP_1)
	v_mad_u64_u32 v[1:2], null, s15, s3, v[4:5]
	v_cmpx_gt_i32_e64 s5, v1
	s_cbranch_execz .LBB10_84
; %bb.10:
	s_clause 0x1
	s_load_b128 s[24:27], s[0:1], 0x0
	s_load_b32 s43, s[0:1], 0x34
	s_mul_i32 s4, s6, s5
	s_mul_hi_i32 s14, s6, s5
	s_mul_i32 s15, s4, s19
	s_mul_hi_u32 s19, s4, s18
	s_mul_i32 s21, s14, s18
	s_add_i32 s15, s19, s15
	s_mul_i32 s14, s4, s18
	s_add_i32 s15, s15, s21
	s_ashr_i32 s17, s5, 31
	s_lshl_b64 s[14:15], s[14:15], 1
	s_ashr_i32 s33, s6, 31
	s_mul_i32 s4, s20, s7
	s_mul_i32 s18, s9, s8
	s_mov_b32 s37, s5
	v_and_b32_e32 v30, 0x3ff, v0
	v_cvt_f32_u32_e32 v4, s37
	s_mov_b32 s40, s6
	s_mov_b32 s41, s8
	s_waitcnt lgkmcnt(0)
	s_add_u32 s7, s24, s14
	s_addc_u32 s36, s25, s15
	s_add_i32 s4, s4, s16
	v_rcp_iflag_f32_e32 v4, v4
	s_mul_i32 s14, s18, s4
	s_mov_b32 s42, s9
	s_ashr_i32 s15, s14, 31
	s_mul_i32 s43, s43, s3
	s_lshl_b64 s[14:15], s[14:15], 1
	s_mov_b32 s20, 0
	s_add_u32 s14, s26, s14
	s_addc_u32 s15, s27, s15
	s_ashr_i32 s38, s5, 31
	s_waitcnt_depctr 0xfff
	v_mul_f32_e32 v4, 0x4f7ffffe, v4
	s_add_i32 s4, s5, s38
	s_sub_i32 s1, 0, s5
	s_xor_b32 s39, s4, s38
	s_ashr_i32 s19, s18, 31
	v_cvt_f32_u32_e32 v2, s39
	v_cvt_u32_f32_e32 v4, v4
	s_sub_i32 s0, 0, s39
	s_and_b32 s44, s2, 0xffff
	s_ashr_i32 s45, s8, 31
	v_rcp_iflag_f32_e32 v2, v2
	v_mul_lo_u32 v6, s1, v4
	s_ashr_i32 s46, s9, 31
	s_lshl_b64 s[18:19], s[18:19], 1
	s_mov_b32 s47, 0
	s_waitcnt_depctr 0xfff
	v_dual_mul_f32 v2, 0x4f7ffffe, v2 :: v_dual_add_nc_u32 v29, 1, v3
	s_delay_alu instid0(VALU_DEP_1) | instskip(NEXT) | instid1(VALU_DEP_2)
	v_cmp_lt_i32_e64 s1, s16, v29
	v_cvt_u32_f32_e32 v5, v2
	s_delay_alu instid0(VALU_DEP_1) | instskip(SKIP_1) | instid1(VALU_DEP_2)
	v_mul_lo_u32 v3, s0, v5
	v_cmp_gt_i32_e64 s0, s6, v30
	v_mul_hi_u32 v0, v5, v3
	v_mul_hi_u32 v3, v4, v6
	s_delay_alu instid0(VALU_DEP_2) | instskip(NEXT) | instid1(VALU_DEP_2)
	v_dual_mov_b32 v2, 0 :: v_dual_add_nc_u32 v31, v5, v0
	v_add_nc_u32_e32 v32, v4, v3
	s_branch .LBB10_12
.LBB10_11:                              ;   in Loop: Header=BB10_12 Depth=1
	s_or_b32 exec_lo, exec_lo, s48
	v_add_nc_u32_e32 v1, s43, v1
	s_delay_alu instid0(VALU_DEP_1) | instskip(SKIP_1) | instid1(SALU_CYCLE_1)
	v_cmp_le_i32_e32 vcc_lo, s5, v1
	s_or_b32 s47, vcc_lo, s47
	s_and_not1_b32 exec_lo, exec_lo, s47
	s_cbranch_execz .LBB10_84
.LBB10_12:                              ; =>This Loop Header: Depth=1
                                        ;     Child Loop BB10_27 Depth 2
                                        ;       Child Loop BB10_42 Depth 3
                                        ;         Child Loop BB10_54 Depth 4
                                        ;           Child Loop BB10_69 Depth 5
	v_ashrrev_i32_e32 v0, 31, v1
	s_mov_b32 s2, exec_lo
                                        ; implicit-def: $vgpr7_vgpr8
	s_delay_alu instid0(VALU_DEP_1) | instskip(NEXT) | instid1(VALU_DEP_1)
	v_or_b32_e32 v3, s17, v0
	v_cmpx_ne_u64_e32 0, v[2:3]
	s_xor_b32 s2, exec_lo, s2
	s_cbranch_execz .LBB10_14
; %bb.13:                               ;   in Loop: Header=BB10_12 Depth=1
	v_ashrrev_i32_e32 v3, 31, v1
	s_delay_alu instid0(VALU_DEP_1) | instskip(NEXT) | instid1(VALU_DEP_1)
	v_add_nc_u32_e32 v4, v1, v3
	v_xor_b32_e32 v4, v4, v3
	v_xor_b32_e32 v3, s38, v3
	s_delay_alu instid0(VALU_DEP_2) | instskip(NEXT) | instid1(VALU_DEP_1)
	v_mul_hi_u32 v5, v4, v31
	v_mul_lo_u32 v6, v5, s39
	s_delay_alu instid0(VALU_DEP_1) | instskip(SKIP_1) | instid1(VALU_DEP_2)
	v_sub_nc_u32_e32 v4, v4, v6
	v_add_nc_u32_e32 v6, 1, v5
	v_subrev_nc_u32_e32 v7, s39, v4
	v_cmp_le_u32_e32 vcc_lo, s39, v4
	s_delay_alu instid0(VALU_DEP_2) | instskip(NEXT) | instid1(VALU_DEP_1)
	v_dual_cndmask_b32 v4, v4, v7 :: v_dual_cndmask_b32 v5, v5, v6
	v_cmp_le_u32_e32 vcc_lo, s39, v4
	s_delay_alu instid0(VALU_DEP_2) | instskip(NEXT) | instid1(VALU_DEP_1)
	v_add_nc_u32_e32 v6, 1, v5
	v_cndmask_b32_e32 v4, v5, v6, vcc_lo
	s_delay_alu instid0(VALU_DEP_1) | instskip(NEXT) | instid1(VALU_DEP_1)
	v_xor_b32_e32 v4, v4, v3
	v_sub_nc_u32_e32 v7, v4, v3
	s_delay_alu instid0(VALU_DEP_1)
	v_ashrrev_i32_e32 v8, 31, v7
.LBB10_14:                              ;   in Loop: Header=BB10_12 Depth=1
	s_and_not1_saveexec_b32 s2, s2
; %bb.15:                               ;   in Loop: Header=BB10_12 Depth=1
	v_mul_hi_u32 v3, v1, v32
	v_mov_b32_e32 v8, v2
	s_delay_alu instid0(VALU_DEP_2) | instskip(NEXT) | instid1(VALU_DEP_1)
	v_mul_lo_u32 v4, v3, s37
	v_sub_nc_u32_e32 v4, v1, v4
	s_delay_alu instid0(VALU_DEP_1) | instskip(SKIP_1) | instid1(VALU_DEP_2)
	v_subrev_nc_u32_e32 v6, s37, v4
	v_cmp_le_u32_e32 vcc_lo, s37, v4
	v_dual_cndmask_b32 v4, v4, v6 :: v_dual_add_nc_u32 v5, 1, v3
	s_delay_alu instid0(VALU_DEP_1) | instskip(NEXT) | instid1(VALU_DEP_2)
	v_cndmask_b32_e32 v3, v3, v5, vcc_lo
	v_cmp_le_u32_e32 vcc_lo, s37, v4
	s_delay_alu instid0(VALU_DEP_2) | instskip(NEXT) | instid1(VALU_DEP_1)
	v_add_nc_u32_e32 v5, 1, v3
	v_cndmask_b32_e32 v7, v3, v5, vcc_lo
; %bb.16:                               ;   in Loop: Header=BB10_12 Depth=1
	s_or_b32 exec_lo, exec_lo, s2
	v_mul_lo_u32 v5, v8, s37
	s_delay_alu instid0(VALU_DEP_2) | instskip(SKIP_2) | instid1(VALU_DEP_1)
	v_mul_lo_u32 v6, v7, s17
	v_mad_u64_u32 v[3:4], null, v7, s37, 0
	s_mov_b32 s2, exec_lo
	v_add3_u32 v4, v4, v6, v5
	s_delay_alu instid0(VALU_DEP_2) | instskip(NEXT) | instid1(VALU_DEP_2)
	v_sub_co_u32 v3, vcc_lo, v1, v3
	v_sub_co_ci_u32_e32 v4, vcc_lo, v0, v4, vcc_lo
	s_delay_alu instid0(VALU_DEP_2) | instskip(NEXT) | instid1(VALU_DEP_2)
	v_mul_lo_u32 v6, v3, s45
	v_mul_lo_u32 v8, v4, s41
	v_mad_u64_u32 v[4:5], null, v3, s41, 0
	s_delay_alu instid0(VALU_DEP_1) | instskip(NEXT) | instid1(VALU_DEP_1)
	v_add3_u32 v5, v5, v6, v8
                                        ; implicit-def: $vgpr8_vgpr9
	v_or_b32_e32 v3, s17, v5
	s_delay_alu instid0(VALU_DEP_1)
	v_cmpx_ne_u64_e32 0, v[2:3]
	s_xor_b32 s3, exec_lo, s2
	s_cbranch_execz .LBB10_18
; %bb.17:                               ;   in Loop: Header=BB10_12 Depth=1
	s_add_u32 s24, s37, s17
	s_mov_b32 s22, s17
	s_mov_b32 s23, s17
	s_addc_u32 s25, s17, s17
	s_delay_alu instid0(SALU_CYCLE_1) | instskip(NEXT) | instid1(SALU_CYCLE_1)
	s_xor_b64 s[24:25], s[24:25], s[22:23]
	v_cvt_f32_u32_e32 v3, s24
	v_cvt_f32_u32_e32 v6, s25
	s_sub_u32 s2, 0, s24
	s_subb_u32 s4, 0, s25
	s_delay_alu instid0(VALU_DEP_1) | instskip(NEXT) | instid1(VALU_DEP_1)
	v_fmac_f32_e32 v3, 0x4f800000, v6
	v_rcp_f32_e32 v3, v3
	s_waitcnt_depctr 0xfff
	v_mul_f32_e32 v3, 0x5f7ffffc, v3
	s_delay_alu instid0(VALU_DEP_1) | instskip(NEXT) | instid1(VALU_DEP_1)
	v_mul_f32_e32 v6, 0x2f800000, v3
	v_trunc_f32_e32 v6, v6
	s_delay_alu instid0(VALU_DEP_1) | instskip(SKIP_1) | instid1(VALU_DEP_2)
	v_fmac_f32_e32 v3, 0xcf800000, v6
	v_cvt_u32_f32_e32 v6, v6
	v_cvt_u32_f32_e32 v3, v3
	s_delay_alu instid0(VALU_DEP_2) | instskip(NEXT) | instid1(VALU_DEP_2)
	v_mul_lo_u32 v8, s2, v6
	v_mul_hi_u32 v9, s2, v3
	v_mul_lo_u32 v10, s4, v3
	s_delay_alu instid0(VALU_DEP_2) | instskip(SKIP_1) | instid1(VALU_DEP_2)
	v_add_nc_u32_e32 v8, v9, v8
	v_mul_lo_u32 v9, s2, v3
	v_add_nc_u32_e32 v8, v8, v10
	s_delay_alu instid0(VALU_DEP_2) | instskip(NEXT) | instid1(VALU_DEP_2)
	v_mul_hi_u32 v10, v3, v9
	v_mul_lo_u32 v11, v3, v8
	v_mul_hi_u32 v12, v3, v8
	v_mul_hi_u32 v13, v6, v9
	v_mul_lo_u32 v9, v6, v9
	v_mul_hi_u32 v14, v6, v8
	v_mul_lo_u32 v8, v6, v8
	v_add_co_u32 v10, vcc_lo, v10, v11
	v_add_co_ci_u32_e32 v11, vcc_lo, 0, v12, vcc_lo
	s_delay_alu instid0(VALU_DEP_2) | instskip(NEXT) | instid1(VALU_DEP_2)
	v_add_co_u32 v9, vcc_lo, v10, v9
	v_add_co_ci_u32_e32 v9, vcc_lo, v11, v13, vcc_lo
	v_add_co_ci_u32_e32 v10, vcc_lo, 0, v14, vcc_lo
	v_ashrrev_i32_e32 v13, 31, v5
	s_delay_alu instid0(VALU_DEP_3) | instskip(NEXT) | instid1(VALU_DEP_3)
	v_add_co_u32 v8, vcc_lo, v9, v8
	v_add_co_ci_u32_e32 v9, vcc_lo, 0, v10, vcc_lo
	s_delay_alu instid0(VALU_DEP_2) | instskip(NEXT) | instid1(VALU_DEP_2)
	v_add_co_u32 v3, vcc_lo, v3, v8
	v_add_co_ci_u32_e32 v6, vcc_lo, v6, v9, vcc_lo
	s_delay_alu instid0(VALU_DEP_2) | instskip(SKIP_1) | instid1(VALU_DEP_3)
	v_mul_hi_u32 v8, s2, v3
	v_mul_lo_u32 v10, s4, v3
	v_mul_lo_u32 v9, s2, v6
	s_delay_alu instid0(VALU_DEP_1) | instskip(SKIP_1) | instid1(VALU_DEP_2)
	v_add_nc_u32_e32 v8, v8, v9
	v_mul_lo_u32 v9, s2, v3
	v_add_nc_u32_e32 v8, v8, v10
	s_delay_alu instid0(VALU_DEP_2) | instskip(NEXT) | instid1(VALU_DEP_2)
	v_mul_hi_u32 v10, v3, v9
	v_mul_lo_u32 v11, v3, v8
	v_mul_hi_u32 v12, v3, v8
	v_mul_hi_u32 v14, v6, v9
	v_mul_lo_u32 v9, v6, v9
	v_mul_hi_u32 v15, v6, v8
	v_mul_lo_u32 v8, v6, v8
	v_add_co_u32 v10, vcc_lo, v10, v11
	v_add_co_ci_u32_e32 v11, vcc_lo, 0, v12, vcc_lo
	s_delay_alu instid0(VALU_DEP_2) | instskip(NEXT) | instid1(VALU_DEP_2)
	v_add_co_u32 v9, vcc_lo, v10, v9
	v_add_co_ci_u32_e32 v9, vcc_lo, v11, v14, vcc_lo
	v_add_co_ci_u32_e32 v10, vcc_lo, 0, v15, vcc_lo
	v_add_co_u32 v4, vcc_lo, v4, v13
	v_add_co_ci_u32_e32 v5, vcc_lo, v5, v13, vcc_lo
	s_delay_alu instid0(VALU_DEP_4) | instskip(NEXT) | instid1(VALU_DEP_4)
	v_add_co_u32 v8, vcc_lo, v9, v8
	v_add_co_ci_u32_e32 v9, vcc_lo, 0, v10, vcc_lo
	s_delay_alu instid0(VALU_DEP_4) | instskip(NEXT) | instid1(VALU_DEP_3)
	v_xor_b32_e32 v10, v4, v13
	v_add_co_u32 v8, vcc_lo, v3, v8
	s_delay_alu instid0(VALU_DEP_3) | instskip(SKIP_1) | instid1(VALU_DEP_3)
	v_add_co_ci_u32_e32 v11, vcc_lo, v6, v9, vcc_lo
	v_xor_b32_e32 v12, v5, v13
	v_mul_hi_u32 v14, v10, v8
	s_delay_alu instid0(VALU_DEP_3) | instskip(NEXT) | instid1(VALU_DEP_3)
	v_mad_u64_u32 v[3:4], null, v10, v11, 0
	v_mad_u64_u32 v[5:6], null, v12, v8, 0
	;; [unrolled: 1-line block ×3, first 2 shown]
	s_delay_alu instid0(VALU_DEP_3) | instskip(NEXT) | instid1(VALU_DEP_4)
	v_add_co_u32 v3, vcc_lo, v14, v3
	v_add_co_ci_u32_e32 v4, vcc_lo, 0, v4, vcc_lo
	s_delay_alu instid0(VALU_DEP_2) | instskip(NEXT) | instid1(VALU_DEP_2)
	v_add_co_u32 v3, vcc_lo, v3, v5
	v_add_co_ci_u32_e32 v3, vcc_lo, v4, v6, vcc_lo
	v_add_co_ci_u32_e32 v4, vcc_lo, 0, v9, vcc_lo
	s_delay_alu instid0(VALU_DEP_2) | instskip(NEXT) | instid1(VALU_DEP_2)
	v_add_co_u32 v5, vcc_lo, v3, v8
	v_add_co_ci_u32_e32 v6, vcc_lo, 0, v4, vcc_lo
	s_delay_alu instid0(VALU_DEP_2) | instskip(SKIP_1) | instid1(VALU_DEP_3)
	v_mul_lo_u32 v8, s25, v5
	v_mad_u64_u32 v[3:4], null, s24, v5, 0
	v_mul_lo_u32 v6, s24, v6
	s_delay_alu instid0(VALU_DEP_2) | instskip(NEXT) | instid1(VALU_DEP_2)
	v_sub_co_u32 v3, vcc_lo, v10, v3
	v_add3_u32 v4, v4, v6, v8
	v_add_co_u32 v8, s2, v5, 2
	s_delay_alu instid0(VALU_DEP_2) | instskip(NEXT) | instid1(VALU_DEP_1)
	v_sub_nc_u32_e32 v6, v12, v4
	v_subrev_co_ci_u32_e64 v6, s2, s25, v6, vcc_lo
	v_sub_co_u32 v9, s2, v3, s24
	v_sub_co_ci_u32_e32 v4, vcc_lo, v12, v4, vcc_lo
	s_delay_alu instid0(VALU_DEP_3) | instskip(NEXT) | instid1(VALU_DEP_3)
	v_subrev_co_ci_u32_e64 v6, s2, 0, v6, s2
	v_cmp_le_u32_e32 vcc_lo, s24, v9
	v_cndmask_b32_e64 v9, 0, -1, vcc_lo
	s_delay_alu instid0(VALU_DEP_3)
	v_cmp_le_u32_e32 vcc_lo, s25, v6
	v_cndmask_b32_e64 v10, 0, -1, vcc_lo
	v_cmp_le_u32_e32 vcc_lo, s24, v3
	v_cndmask_b32_e64 v3, 0, -1, vcc_lo
	;; [unrolled: 2-line block ×3, first 2 shown]
	v_cmp_eq_u32_e32 vcc_lo, s25, v6
	v_cndmask_b32_e32 v6, v10, v9, vcc_lo
	v_add_co_u32 v9, vcc_lo, v5, 1
	v_cmp_eq_u32_e32 vcc_lo, s25, v4
	v_cndmask_b32_e32 v3, v11, v3, vcc_lo
	s_delay_alu instid0(VALU_DEP_4) | instskip(NEXT) | instid1(VALU_DEP_4)
	v_cmp_ne_u32_e32 vcc_lo, 0, v6
	v_cndmask_b32_e32 v4, v9, v8, vcc_lo
	s_delay_alu instid0(VALU_DEP_3) | instskip(NEXT) | instid1(VALU_DEP_2)
	v_cmp_ne_u32_e32 vcc_lo, 0, v3
	v_cndmask_b32_e32 v3, v5, v4, vcc_lo
	v_xor_b32_e32 v4, s22, v13
	s_delay_alu instid0(VALU_DEP_1) | instskip(NEXT) | instid1(VALU_DEP_1)
	v_xor_b32_e32 v3, v3, v4
	v_sub_co_u32 v8, vcc_lo, v3, v4
                                        ; implicit-def: $vgpr4_vgpr5
.LBB10_18:                              ;   in Loop: Header=BB10_12 Depth=1
	s_and_not1_saveexec_b32 s2, s3
; %bb.19:                               ;   in Loop: Header=BB10_12 Depth=1
	s_delay_alu instid0(VALU_DEP_4) | instskip(NEXT) | instid1(VALU_DEP_1)
	v_mul_hi_u32 v3, v4, v32
	v_mul_lo_u32 v5, v3, s37
	s_delay_alu instid0(VALU_DEP_1) | instskip(NEXT) | instid1(VALU_DEP_1)
	v_sub_nc_u32_e32 v4, v4, v5
	v_subrev_nc_u32_e32 v6, s37, v4
	v_cmp_le_u32_e32 vcc_lo, s37, v4
	s_delay_alu instid0(VALU_DEP_2) | instskip(NEXT) | instid1(VALU_DEP_1)
	v_dual_cndmask_b32 v4, v4, v6 :: v_dual_add_nc_u32 v5, 1, v3
	v_cndmask_b32_e32 v3, v3, v5, vcc_lo
	s_delay_alu instid0(VALU_DEP_2) | instskip(NEXT) | instid1(VALU_DEP_2)
	v_cmp_le_u32_e32 vcc_lo, s37, v4
	v_add_nc_u32_e32 v5, 1, v3
	s_delay_alu instid0(VALU_DEP_1)
	v_cndmask_b32_e32 v8, v3, v5, vcc_lo
; %bb.20:                               ;   in Loop: Header=BB10_12 Depth=1
	s_or_b32 exec_lo, exec_lo, s2
	v_add_co_u32 v3, vcc_lo, v1, 1
	v_add_co_ci_u32_e32 v0, vcc_lo, 0, v0, vcc_lo
                                        ; implicit-def: $vgpr9_vgpr10
	s_mov_b32 s2, exec_lo
	s_delay_alu instid0(VALU_DEP_2) | instskip(SKIP_1) | instid1(VALU_DEP_3)
	v_mul_lo_u32 v6, v3, s45
	v_mad_u64_u32 v[4:5], null, v3, s41, -1
	v_mul_lo_u32 v0, v0, s41
	s_delay_alu instid0(VALU_DEP_1) | instskip(NEXT) | instid1(VALU_DEP_1)
	v_add3_u32 v5, v0, v5, v6
	v_or_b32_e32 v3, s17, v5
	s_delay_alu instid0(VALU_DEP_1)
	v_cmpx_ne_u64_e32 0, v[2:3]
	s_xor_b32 s3, exec_lo, s2
	s_cbranch_execnz .LBB10_23
; %bb.21:                               ;   in Loop: Header=BB10_12 Depth=1
	s_and_not1_saveexec_b32 s2, s3
	s_cbranch_execnz .LBB10_24
.LBB10_22:                              ;   in Loop: Header=BB10_12 Depth=1
	s_or_b32 exec_lo, exec_lo, s2
	s_and_saveexec_b32 s48, s0
	s_cbranch_execz .LBB10_11
	s_branch .LBB10_25
.LBB10_23:                              ;   in Loop: Header=BB10_12 Depth=1
	s_add_u32 s24, s37, s17
	s_mov_b32 s22, s17
	s_mov_b32 s23, s17
	s_addc_u32 s25, s17, s17
	s_delay_alu instid0(SALU_CYCLE_1) | instskip(NEXT) | instid1(SALU_CYCLE_1)
	s_xor_b64 s[24:25], s[24:25], s[22:23]
	v_cvt_f32_u32_e32 v0, s24
	v_cvt_f32_u32_e32 v3, s25
	s_sub_u32 s2, 0, s24
	s_subb_u32 s4, 0, s25
	s_delay_alu instid0(VALU_DEP_1) | instskip(NEXT) | instid1(VALU_DEP_1)
	v_fmac_f32_e32 v0, 0x4f800000, v3
	v_rcp_f32_e32 v0, v0
	s_waitcnt_depctr 0xfff
	v_mul_f32_e32 v0, 0x5f7ffffc, v0
	s_delay_alu instid0(VALU_DEP_1) | instskip(NEXT) | instid1(VALU_DEP_1)
	v_mul_f32_e32 v3, 0x2f800000, v0
	v_trunc_f32_e32 v3, v3
	s_delay_alu instid0(VALU_DEP_1) | instskip(SKIP_1) | instid1(VALU_DEP_2)
	v_fmac_f32_e32 v0, 0xcf800000, v3
	v_cvt_u32_f32_e32 v3, v3
	v_cvt_u32_f32_e32 v0, v0
	s_delay_alu instid0(VALU_DEP_2) | instskip(NEXT) | instid1(VALU_DEP_2)
	v_mul_lo_u32 v6, s2, v3
	v_mul_hi_u32 v9, s2, v0
	v_mul_lo_u32 v10, s4, v0
	s_delay_alu instid0(VALU_DEP_2) | instskip(SKIP_1) | instid1(VALU_DEP_2)
	v_add_nc_u32_e32 v6, v9, v6
	v_mul_lo_u32 v9, s2, v0
	v_add_nc_u32_e32 v6, v6, v10
	s_delay_alu instid0(VALU_DEP_2) | instskip(NEXT) | instid1(VALU_DEP_2)
	v_mul_hi_u32 v10, v0, v9
	v_mul_lo_u32 v11, v0, v6
	v_mul_hi_u32 v12, v0, v6
	v_mul_hi_u32 v13, v3, v9
	v_mul_lo_u32 v9, v3, v9
	v_mul_hi_u32 v14, v3, v6
	v_mul_lo_u32 v6, v3, v6
	v_add_co_u32 v10, vcc_lo, v10, v11
	v_add_co_ci_u32_e32 v11, vcc_lo, 0, v12, vcc_lo
	s_delay_alu instid0(VALU_DEP_2) | instskip(NEXT) | instid1(VALU_DEP_2)
	v_add_co_u32 v9, vcc_lo, v10, v9
	v_add_co_ci_u32_e32 v9, vcc_lo, v11, v13, vcc_lo
	v_add_co_ci_u32_e32 v10, vcc_lo, 0, v14, vcc_lo
	v_ashrrev_i32_e32 v13, 31, v5
	s_delay_alu instid0(VALU_DEP_3) | instskip(NEXT) | instid1(VALU_DEP_3)
	v_add_co_u32 v6, vcc_lo, v9, v6
	v_add_co_ci_u32_e32 v9, vcc_lo, 0, v10, vcc_lo
	s_delay_alu instid0(VALU_DEP_2) | instskip(NEXT) | instid1(VALU_DEP_2)
	v_add_co_u32 v0, vcc_lo, v0, v6
	v_add_co_ci_u32_e32 v3, vcc_lo, v3, v9, vcc_lo
	s_delay_alu instid0(VALU_DEP_2) | instskip(SKIP_1) | instid1(VALU_DEP_3)
	v_mul_hi_u32 v6, s2, v0
	v_mul_lo_u32 v10, s4, v0
	v_mul_lo_u32 v9, s2, v3
	s_delay_alu instid0(VALU_DEP_1) | instskip(SKIP_1) | instid1(VALU_DEP_2)
	v_add_nc_u32_e32 v6, v6, v9
	v_mul_lo_u32 v9, s2, v0
	v_add_nc_u32_e32 v6, v6, v10
	s_delay_alu instid0(VALU_DEP_2) | instskip(NEXT) | instid1(VALU_DEP_2)
	v_mul_hi_u32 v10, v0, v9
	v_mul_lo_u32 v11, v0, v6
	v_mul_hi_u32 v12, v0, v6
	v_mul_hi_u32 v14, v3, v9
	v_mul_lo_u32 v9, v3, v9
	v_mul_hi_u32 v15, v3, v6
	v_mul_lo_u32 v6, v3, v6
	v_add_co_u32 v10, vcc_lo, v10, v11
	v_add_co_ci_u32_e32 v11, vcc_lo, 0, v12, vcc_lo
	s_delay_alu instid0(VALU_DEP_2) | instskip(NEXT) | instid1(VALU_DEP_2)
	v_add_co_u32 v9, vcc_lo, v10, v9
	v_add_co_ci_u32_e32 v9, vcc_lo, v11, v14, vcc_lo
	v_add_co_ci_u32_e32 v10, vcc_lo, 0, v15, vcc_lo
	v_add_co_u32 v4, vcc_lo, v4, v13
	v_add_co_ci_u32_e32 v5, vcc_lo, v5, v13, vcc_lo
	s_delay_alu instid0(VALU_DEP_4) | instskip(NEXT) | instid1(VALU_DEP_4)
	v_add_co_u32 v6, vcc_lo, v9, v6
	v_add_co_ci_u32_e32 v9, vcc_lo, 0, v10, vcc_lo
	s_delay_alu instid0(VALU_DEP_4) | instskip(NEXT) | instid1(VALU_DEP_3)
	v_xor_b32_e32 v11, v4, v13
	v_add_co_u32 v0, vcc_lo, v0, v6
	s_delay_alu instid0(VALU_DEP_3) | instskip(SKIP_1) | instid1(VALU_DEP_3)
	v_add_co_ci_u32_e32 v12, vcc_lo, v3, v9, vcc_lo
	v_xor_b32_e32 v14, v5, v13
	v_mul_hi_u32 v15, v11, v0
	s_delay_alu instid0(VALU_DEP_3) | instskip(NEXT) | instid1(VALU_DEP_3)
	v_mad_u64_u32 v[3:4], null, v11, v12, 0
	v_mad_u64_u32 v[5:6], null, v14, v0, 0
	;; [unrolled: 1-line block ×3, first 2 shown]
	s_delay_alu instid0(VALU_DEP_3) | instskip(NEXT) | instid1(VALU_DEP_4)
	v_add_co_u32 v0, vcc_lo, v15, v3
	v_add_co_ci_u32_e32 v3, vcc_lo, 0, v4, vcc_lo
	s_delay_alu instid0(VALU_DEP_2) | instskip(NEXT) | instid1(VALU_DEP_2)
	v_add_co_u32 v0, vcc_lo, v0, v5
	v_add_co_ci_u32_e32 v0, vcc_lo, v3, v6, vcc_lo
	v_add_co_ci_u32_e32 v3, vcc_lo, 0, v10, vcc_lo
	s_delay_alu instid0(VALU_DEP_2) | instskip(NEXT) | instid1(VALU_DEP_2)
	v_add_co_u32 v0, vcc_lo, v0, v9
	v_add_co_ci_u32_e32 v5, vcc_lo, 0, v3, vcc_lo
	s_delay_alu instid0(VALU_DEP_2) | instskip(SKIP_1) | instid1(VALU_DEP_3)
	v_mul_lo_u32 v6, s25, v0
	v_mad_u64_u32 v[3:4], null, s24, v0, 0
	v_mul_lo_u32 v5, s24, v5
	s_delay_alu instid0(VALU_DEP_2) | instskip(NEXT) | instid1(VALU_DEP_2)
	v_sub_co_u32 v3, vcc_lo, v11, v3
	v_add3_u32 v4, v4, v5, v6
	v_add_co_u32 v6, s2, v0, 2
	s_delay_alu instid0(VALU_DEP_2) | instskip(NEXT) | instid1(VALU_DEP_1)
	v_sub_nc_u32_e32 v5, v14, v4
	v_subrev_co_ci_u32_e64 v5, s2, s25, v5, vcc_lo
	v_sub_co_u32 v9, s2, v3, s24
	v_sub_co_ci_u32_e32 v4, vcc_lo, v14, v4, vcc_lo
	s_delay_alu instid0(VALU_DEP_3) | instskip(NEXT) | instid1(VALU_DEP_3)
	v_subrev_co_ci_u32_e64 v5, s2, 0, v5, s2
	v_cmp_le_u32_e32 vcc_lo, s24, v9
	v_cndmask_b32_e64 v9, 0, -1, vcc_lo
	s_delay_alu instid0(VALU_DEP_3)
	v_cmp_le_u32_e32 vcc_lo, s25, v5
	v_cndmask_b32_e64 v10, 0, -1, vcc_lo
	v_cmp_le_u32_e32 vcc_lo, s24, v3
	v_cndmask_b32_e64 v3, 0, -1, vcc_lo
	;; [unrolled: 2-line block ×3, first 2 shown]
	v_cmp_eq_u32_e32 vcc_lo, s25, v5
	v_cndmask_b32_e32 v5, v10, v9, vcc_lo
	v_add_co_u32 v9, vcc_lo, v0, 1
	v_cmp_eq_u32_e32 vcc_lo, s25, v4
	v_cndmask_b32_e32 v3, v11, v3, vcc_lo
	s_delay_alu instid0(VALU_DEP_4) | instskip(NEXT) | instid1(VALU_DEP_4)
	v_cmp_ne_u32_e32 vcc_lo, 0, v5
	v_cndmask_b32_e32 v4, v9, v6, vcc_lo
	s_delay_alu instid0(VALU_DEP_3) | instskip(SKIP_1) | instid1(VALU_DEP_3)
	v_cmp_ne_u32_e32 vcc_lo, 0, v3
	v_xor_b32_e32 v3, s22, v13
	v_cndmask_b32_e32 v0, v0, v4, vcc_lo
                                        ; implicit-def: $vgpr4_vgpr5
	s_delay_alu instid0(VALU_DEP_1) | instskip(NEXT) | instid1(VALU_DEP_1)
	v_xor_b32_e32 v0, v0, v3
	v_sub_co_u32 v9, vcc_lo, v0, v3
	s_and_not1_saveexec_b32 s2, s3
	s_cbranch_execz .LBB10_22
.LBB10_24:                              ;   in Loop: Header=BB10_12 Depth=1
	v_mul_hi_u32 v0, v4, v32
	s_delay_alu instid0(VALU_DEP_1) | instskip(NEXT) | instid1(VALU_DEP_1)
	v_mul_lo_u32 v3, v0, s37
	v_sub_nc_u32_e32 v3, v4, v3
	s_delay_alu instid0(VALU_DEP_1) | instskip(SKIP_1) | instid1(VALU_DEP_2)
	v_subrev_nc_u32_e32 v5, s37, v3
	v_cmp_le_u32_e32 vcc_lo, s37, v3
	v_dual_cndmask_b32 v3, v3, v5 :: v_dual_add_nc_u32 v4, 1, v0
	s_delay_alu instid0(VALU_DEP_1) | instskip(NEXT) | instid1(VALU_DEP_2)
	v_cndmask_b32_e32 v0, v0, v4, vcc_lo
	v_cmp_le_u32_e32 vcc_lo, s37, v3
	s_delay_alu instid0(VALU_DEP_2) | instskip(NEXT) | instid1(VALU_DEP_1)
	v_add_nc_u32_e32 v4, 1, v0
	v_cndmask_b32_e32 v9, v0, v4, vcc_lo
	s_or_b32 exec_lo, exec_lo, s2
	s_and_saveexec_b32 s48, s0
	s_cbranch_execz .LBB10_11
.LBB10_25:                              ;   in Loop: Header=BB10_12 Depth=1
	v_mul_lo_u32 v10, v1, s6
	v_mad_u64_u32 v[4:5], null, v7, s41, v[8:9]
	v_add_nc_u32_e32 v33, 1, v9
	s_mov_b32 s49, 0
	s_delay_alu instid0(VALU_DEP_3) | instskip(NEXT) | instid1(VALU_DEP_1)
	v_ashrrev_i32_e32 v11, 31, v10
	v_lshlrev_b64 v[9:10], 1, v[10:11]
	s_delay_alu instid0(VALU_DEP_1)
	v_mad_u64_u32 v[5:6], null, s8, v7, v[8:9]
	v_mov_b32_e32 v6, v30
	v_add_co_u32 v34, vcc_lo, s7, v9
	v_cmp_gt_i32_e64 s2, v33, v4
	v_add_co_ci_u32_e32 v35, vcc_lo, s36, v10, vcc_lo
	s_branch .LBB10_27
.LBB10_26:                              ;   in Loop: Header=BB10_27 Depth=2
	v_add_nc_u32_e32 v6, s44, v6
	s_delay_alu instid0(VALU_DEP_1) | instskip(SKIP_1) | instid1(SALU_CYCLE_1)
	v_cmp_le_i32_e32 vcc_lo, s6, v6
	s_or_b32 s49, vcc_lo, s49
	s_and_not1_b32 exec_lo, exec_lo, s49
	s_cbranch_execz .LBB10_11
.LBB10_27:                              ;   Parent Loop BB10_12 Depth=1
                                        ; =>  This Loop Header: Depth=2
                                        ;       Child Loop BB10_42 Depth 3
                                        ;         Child Loop BB10_54 Depth 4
                                        ;           Child Loop BB10_69 Depth 5
	v_or_b32_e64 v3, 0, s33
	v_mov_b32_e32 v7, v2
                                        ; implicit-def: $vgpr10_vgpr11
	s_mov_b32 s3, exec_lo
	s_delay_alu instid0(VALU_DEP_2)
	v_cmpx_ne_u64_e32 0, v[2:3]
	s_xor_b32 s4, exec_lo, s3
	s_cbranch_execz .LBB10_29
; %bb.28:                               ;   in Loop: Header=BB10_27 Depth=2
	s_add_u32 s24, s40, s33
	s_mov_b32 s22, s33
	s_mov_b32 s23, s33
	s_addc_u32 s25, s33, s33
	s_delay_alu instid0(SALU_CYCLE_1) | instskip(NEXT) | instid1(SALU_CYCLE_1)
	s_xor_b64 s[24:25], s[24:25], s[22:23]
	v_cvt_f32_u32_e32 v0, s24
	v_cvt_f32_u32_e32 v3, s25
	s_sub_u32 s3, 0, s24
	s_subb_u32 s21, 0, s25
	s_delay_alu instid0(VALU_DEP_1) | instskip(NEXT) | instid1(VALU_DEP_1)
	v_fmac_f32_e32 v0, 0x4f800000, v3
	v_rcp_f32_e32 v0, v0
	s_waitcnt_depctr 0xfff
	v_mul_f32_e32 v0, 0x5f7ffffc, v0
	s_delay_alu instid0(VALU_DEP_1) | instskip(NEXT) | instid1(VALU_DEP_1)
	v_mul_f32_e32 v3, 0x2f800000, v0
	v_trunc_f32_e32 v3, v3
	s_delay_alu instid0(VALU_DEP_1) | instskip(SKIP_1) | instid1(VALU_DEP_2)
	v_fmac_f32_e32 v0, 0xcf800000, v3
	v_cvt_u32_f32_e32 v3, v3
	v_cvt_u32_f32_e32 v0, v0
	s_delay_alu instid0(VALU_DEP_2) | instskip(NEXT) | instid1(VALU_DEP_2)
	v_mul_lo_u32 v8, s3, v3
	v_mul_hi_u32 v9, s3, v0
	v_mul_lo_u32 v10, s21, v0
	s_delay_alu instid0(VALU_DEP_2) | instskip(SKIP_1) | instid1(VALU_DEP_2)
	v_add_nc_u32_e32 v8, v9, v8
	v_mul_lo_u32 v9, s3, v0
	v_add_nc_u32_e32 v8, v8, v10
	s_delay_alu instid0(VALU_DEP_2) | instskip(NEXT) | instid1(VALU_DEP_2)
	v_mul_hi_u32 v10, v0, v9
	v_mul_lo_u32 v11, v0, v8
	v_mul_hi_u32 v12, v0, v8
	v_mul_hi_u32 v13, v3, v9
	v_mul_lo_u32 v9, v3, v9
	v_mul_hi_u32 v14, v3, v8
	v_mul_lo_u32 v8, v3, v8
	v_add_co_u32 v10, vcc_lo, v10, v11
	v_add_co_ci_u32_e32 v11, vcc_lo, 0, v12, vcc_lo
	s_delay_alu instid0(VALU_DEP_2) | instskip(NEXT) | instid1(VALU_DEP_2)
	v_add_co_u32 v9, vcc_lo, v10, v9
	v_add_co_ci_u32_e32 v9, vcc_lo, v11, v13, vcc_lo
	v_add_co_ci_u32_e32 v10, vcc_lo, 0, v14, vcc_lo
	v_ashrrev_i32_e64 v14, 31, 0
	s_delay_alu instid0(VALU_DEP_3) | instskip(NEXT) | instid1(VALU_DEP_3)
	v_add_co_u32 v8, vcc_lo, v9, v8
	v_add_co_ci_u32_e32 v9, vcc_lo, 0, v10, vcc_lo
	s_delay_alu instid0(VALU_DEP_2) | instskip(NEXT) | instid1(VALU_DEP_2)
	v_add_co_u32 v0, vcc_lo, v0, v8
	v_add_co_ci_u32_e32 v3, vcc_lo, v3, v9, vcc_lo
	s_delay_alu instid0(VALU_DEP_2) | instskip(SKIP_1) | instid1(VALU_DEP_3)
	v_mul_hi_u32 v8, s3, v0
	v_mul_lo_u32 v10, s21, v0
	v_mul_lo_u32 v9, s3, v3
	s_delay_alu instid0(VALU_DEP_1) | instskip(SKIP_1) | instid1(VALU_DEP_2)
	v_add_nc_u32_e32 v8, v8, v9
	v_mul_lo_u32 v9, s3, v0
	v_add_nc_u32_e32 v8, v8, v10
	s_delay_alu instid0(VALU_DEP_2) | instskip(NEXT) | instid1(VALU_DEP_2)
	v_mul_hi_u32 v10, v0, v9
	v_mul_lo_u32 v11, v0, v8
	v_mul_hi_u32 v12, v0, v8
	v_mul_hi_u32 v13, v3, v9
	v_mul_lo_u32 v9, v3, v9
	v_mul_hi_u32 v15, v3, v8
	v_mul_lo_u32 v8, v3, v8
	v_add_co_u32 v10, vcc_lo, v10, v11
	v_add_co_ci_u32_e32 v11, vcc_lo, 0, v12, vcc_lo
	s_delay_alu instid0(VALU_DEP_2) | instskip(NEXT) | instid1(VALU_DEP_2)
	v_add_co_u32 v9, vcc_lo, v10, v9
	v_add_co_ci_u32_e32 v9, vcc_lo, v11, v13, vcc_lo
	v_add_co_ci_u32_e32 v10, vcc_lo, 0, v15, vcc_lo
	v_add_co_u32 v11, vcc_lo, v6, v14
	v_add_co_ci_u32_e32 v12, vcc_lo, 0, v14, vcc_lo
	s_delay_alu instid0(VALU_DEP_4) | instskip(NEXT) | instid1(VALU_DEP_4)
	v_add_co_u32 v8, vcc_lo, v9, v8
	v_add_co_ci_u32_e32 v9, vcc_lo, 0, v10, vcc_lo
	s_delay_alu instid0(VALU_DEP_4) | instskip(NEXT) | instid1(VALU_DEP_3)
	v_xor_b32_e32 v15, v11, v14
	v_add_co_u32 v0, vcc_lo, v0, v8
	s_delay_alu instid0(VALU_DEP_3) | instskip(SKIP_1) | instid1(VALU_DEP_3)
	v_add_co_ci_u32_e32 v3, vcc_lo, v3, v9, vcc_lo
	v_xor_b32_e32 v16, v12, v14
	v_mul_hi_u32 v17, v15, v0
	s_delay_alu instid0(VALU_DEP_3) | instskip(NEXT) | instid1(VALU_DEP_3)
	v_mad_u64_u32 v[8:9], null, v15, v3, 0
	v_mad_u64_u32 v[10:11], null, v16, v0, 0
	;; [unrolled: 1-line block ×3, first 2 shown]
	s_delay_alu instid0(VALU_DEP_3) | instskip(NEXT) | instid1(VALU_DEP_4)
	v_add_co_u32 v0, vcc_lo, v17, v8
	v_add_co_ci_u32_e32 v3, vcc_lo, 0, v9, vcc_lo
	s_delay_alu instid0(VALU_DEP_2) | instskip(NEXT) | instid1(VALU_DEP_2)
	v_add_co_u32 v0, vcc_lo, v0, v10
	v_add_co_ci_u32_e32 v0, vcc_lo, v3, v11, vcc_lo
	v_add_co_ci_u32_e32 v3, vcc_lo, 0, v13, vcc_lo
	s_delay_alu instid0(VALU_DEP_2) | instskip(NEXT) | instid1(VALU_DEP_2)
	v_add_co_u32 v0, vcc_lo, v0, v12
	v_add_co_ci_u32_e32 v3, vcc_lo, 0, v3, vcc_lo
	s_delay_alu instid0(VALU_DEP_2) | instskip(SKIP_1) | instid1(VALU_DEP_3)
	v_mul_lo_u32 v10, s25, v0
	v_mad_u64_u32 v[8:9], null, s24, v0, 0
	v_mul_lo_u32 v11, s24, v3
	s_delay_alu instid0(VALU_DEP_2) | instskip(NEXT) | instid1(VALU_DEP_2)
	v_sub_co_u32 v8, vcc_lo, v15, v8
	v_add3_u32 v9, v9, v11, v10
	s_delay_alu instid0(VALU_DEP_1) | instskip(NEXT) | instid1(VALU_DEP_1)
	v_sub_nc_u32_e32 v10, v16, v9
	v_subrev_co_ci_u32_e64 v10, s3, s25, v10, vcc_lo
	v_add_co_u32 v11, s3, v0, 2
	s_delay_alu instid0(VALU_DEP_1) | instskip(SKIP_3) | instid1(VALU_DEP_3)
	v_add_co_ci_u32_e64 v12, s3, 0, v3, s3
	v_sub_co_u32 v13, s3, v8, s24
	v_sub_co_ci_u32_e32 v9, vcc_lo, v16, v9, vcc_lo
	v_subrev_co_ci_u32_e64 v10, s3, 0, v10, s3
	v_cmp_le_u32_e32 vcc_lo, s24, v13
	s_delay_alu instid0(VALU_DEP_3) | instskip(SKIP_1) | instid1(VALU_DEP_4)
	v_cmp_eq_u32_e64 s3, s25, v9
	v_cndmask_b32_e64 v13, 0, -1, vcc_lo
	v_cmp_le_u32_e32 vcc_lo, s25, v10
	v_cndmask_b32_e64 v15, 0, -1, vcc_lo
	v_cmp_le_u32_e32 vcc_lo, s24, v8
	;; [unrolled: 2-line block ×3, first 2 shown]
	v_cndmask_b32_e64 v16, 0, -1, vcc_lo
	v_cmp_eq_u32_e32 vcc_lo, s25, v10
	s_delay_alu instid0(VALU_DEP_2) | instskip(SKIP_3) | instid1(VALU_DEP_3)
	v_cndmask_b32_e64 v8, v16, v8, s3
	v_cndmask_b32_e32 v10, v15, v13, vcc_lo
	v_add_co_u32 v13, vcc_lo, v0, 1
	v_add_co_ci_u32_e32 v15, vcc_lo, 0, v3, vcc_lo
	v_cmp_ne_u32_e32 vcc_lo, 0, v10
	s_delay_alu instid0(VALU_DEP_2) | instskip(SKIP_2) | instid1(VALU_DEP_3)
	v_dual_cndmask_b32 v9, v15, v12 :: v_dual_cndmask_b32 v10, v13, v11
	v_cmp_ne_u32_e32 vcc_lo, 0, v8
	v_xor_b32_e32 v8, s22, v14
	v_dual_cndmask_b32 v0, v0, v10 :: v_dual_cndmask_b32 v3, v3, v9
	v_xor_b32_e32 v9, s23, v14
	s_delay_alu instid0(VALU_DEP_2) | instskip(NEXT) | instid1(VALU_DEP_2)
	v_xor_b32_e32 v0, v0, v8
	v_xor_b32_e32 v3, v3, v9
	s_delay_alu instid0(VALU_DEP_2) | instskip(NEXT) | instid1(VALU_DEP_2)
	v_sub_co_u32 v10, vcc_lo, v0, v8
	v_sub_co_ci_u32_e32 v11, vcc_lo, v3, v9, vcc_lo
.LBB10_29:                              ;   in Loop: Header=BB10_27 Depth=2
	s_or_saveexec_b32 s3, s4
	v_cvt_f32_u32_e32 v0, s40
	s_xor_b32 exec_lo, exec_lo, s3
	s_cbranch_execz .LBB10_31
; %bb.30:                               ;   in Loop: Header=BB10_27 Depth=2
	s_delay_alu instid0(VALU_DEP_1) | instskip(SKIP_4) | instid1(VALU_DEP_1)
	v_rcp_iflag_f32_e32 v3, v0
	s_sub_i32 s4, 0, s40
	v_mov_b32_e32 v11, v2
	s_waitcnt_depctr 0xfff
	v_mul_f32_e32 v3, 0x4f7ffffe, v3
	v_cvt_u32_f32_e32 v3, v3
	s_delay_alu instid0(VALU_DEP_1) | instskip(NEXT) | instid1(VALU_DEP_1)
	v_mul_lo_u32 v8, s4, v3
	v_mul_hi_u32 v8, v3, v8
	s_delay_alu instid0(VALU_DEP_1) | instskip(NEXT) | instid1(VALU_DEP_1)
	v_add_nc_u32_e32 v3, v3, v8
	v_mul_hi_u32 v3, v6, v3
	s_delay_alu instid0(VALU_DEP_1) | instskip(SKIP_1) | instid1(VALU_DEP_2)
	v_mul_lo_u32 v8, v3, s40
	v_add_nc_u32_e32 v9, 1, v3
	v_sub_nc_u32_e32 v8, v6, v8
	s_delay_alu instid0(VALU_DEP_1) | instskip(SKIP_1) | instid1(VALU_DEP_2)
	v_subrev_nc_u32_e32 v10, s40, v8
	v_cmp_le_u32_e32 vcc_lo, s40, v8
	v_dual_cndmask_b32 v8, v8, v10 :: v_dual_cndmask_b32 v3, v3, v9
	s_delay_alu instid0(VALU_DEP_1) | instskip(NEXT) | instid1(VALU_DEP_2)
	v_cmp_le_u32_e32 vcc_lo, s40, v8
	v_add_nc_u32_e32 v9, 1, v3
	s_delay_alu instid0(VALU_DEP_1)
	v_cndmask_b32_e32 v10, v3, v9, vcc_lo
.LBB10_31:                              ;   in Loop: Header=BB10_27 Depth=2
	s_or_b32 exec_lo, exec_lo, s3
	v_mul_lo_u32 v3, v11, s40
	s_delay_alu instid0(VALU_DEP_2) | instskip(SKIP_2) | instid1(VALU_DEP_1)
	v_mul_lo_u32 v11, v10, s33
	v_mad_u64_u32 v[8:9], null, v10, s40, 0
                                        ; implicit-def: $vgpr14_vgpr15
	s_mov_b32 s3, exec_lo
	v_add3_u32 v3, v9, v11, v3
	s_delay_alu instid0(VALU_DEP_2) | instskip(NEXT) | instid1(VALU_DEP_2)
	v_sub_co_u32 v11, vcc_lo, v6, v8
	v_sub_co_ci_u32_e32 v3, vcc_lo, 0, v3, vcc_lo
	s_delay_alu instid0(VALU_DEP_2) | instskip(SKIP_1) | instid1(VALU_DEP_3)
	v_mul_lo_u32 v12, v11, s46
	v_mad_u64_u32 v[8:9], null, v11, s42, 0
	v_mul_lo_u32 v3, v3, s42
	s_delay_alu instid0(VALU_DEP_1) | instskip(NEXT) | instid1(VALU_DEP_1)
	v_add3_u32 v9, v9, v12, v3
	v_or_b32_e32 v3, s33, v9
	s_delay_alu instid0(VALU_DEP_1)
	v_cmpx_ne_u64_e32 0, v[2:3]
	s_xor_b32 s4, exec_lo, s3
	s_cbranch_execz .LBB10_33
; %bb.32:                               ;   in Loop: Header=BB10_27 Depth=2
	s_add_u32 s24, s40, s33
	s_mov_b32 s22, s33
	s_mov_b32 s23, s33
	s_addc_u32 s25, s33, s33
	s_delay_alu instid0(SALU_CYCLE_1) | instskip(NEXT) | instid1(SALU_CYCLE_1)
	s_xor_b64 s[24:25], s[24:25], s[22:23]
	v_cvt_f32_u32_e32 v3, s24
	v_cvt_f32_u32_e32 v11, s25
	s_sub_u32 s3, 0, s24
	s_subb_u32 s21, 0, s25
	s_delay_alu instid0(VALU_DEP_1) | instskip(NEXT) | instid1(VALU_DEP_1)
	v_fmac_f32_e32 v3, 0x4f800000, v11
	v_rcp_f32_e32 v3, v3
	s_waitcnt_depctr 0xfff
	v_mul_f32_e32 v3, 0x5f7ffffc, v3
	s_delay_alu instid0(VALU_DEP_1) | instskip(NEXT) | instid1(VALU_DEP_1)
	v_mul_f32_e32 v11, 0x2f800000, v3
	v_trunc_f32_e32 v11, v11
	s_delay_alu instid0(VALU_DEP_1) | instskip(SKIP_1) | instid1(VALU_DEP_2)
	v_fmac_f32_e32 v3, 0xcf800000, v11
	v_cvt_u32_f32_e32 v11, v11
	v_cvt_u32_f32_e32 v3, v3
	s_delay_alu instid0(VALU_DEP_2) | instskip(NEXT) | instid1(VALU_DEP_2)
	v_mul_lo_u32 v12, s3, v11
	v_mul_hi_u32 v13, s3, v3
	v_mul_lo_u32 v14, s21, v3
	s_delay_alu instid0(VALU_DEP_2) | instskip(SKIP_1) | instid1(VALU_DEP_2)
	v_add_nc_u32_e32 v12, v13, v12
	v_mul_lo_u32 v13, s3, v3
	v_add_nc_u32_e32 v12, v12, v14
	s_delay_alu instid0(VALU_DEP_2) | instskip(NEXT) | instid1(VALU_DEP_2)
	v_mul_hi_u32 v14, v3, v13
	v_mul_lo_u32 v15, v3, v12
	v_mul_hi_u32 v16, v3, v12
	v_mul_hi_u32 v17, v11, v13
	v_mul_lo_u32 v13, v11, v13
	v_mul_hi_u32 v18, v11, v12
	v_mul_lo_u32 v12, v11, v12
	v_add_co_u32 v14, vcc_lo, v14, v15
	v_add_co_ci_u32_e32 v15, vcc_lo, 0, v16, vcc_lo
	s_delay_alu instid0(VALU_DEP_2) | instskip(NEXT) | instid1(VALU_DEP_2)
	v_add_co_u32 v13, vcc_lo, v14, v13
	v_add_co_ci_u32_e32 v13, vcc_lo, v15, v17, vcc_lo
	v_add_co_ci_u32_e32 v14, vcc_lo, 0, v18, vcc_lo
	v_ashrrev_i32_e32 v17, 31, v9
	s_delay_alu instid0(VALU_DEP_3) | instskip(NEXT) | instid1(VALU_DEP_3)
	v_add_co_u32 v12, vcc_lo, v13, v12
	v_add_co_ci_u32_e32 v13, vcc_lo, 0, v14, vcc_lo
	s_delay_alu instid0(VALU_DEP_2) | instskip(NEXT) | instid1(VALU_DEP_2)
	v_add_co_u32 v3, vcc_lo, v3, v12
	v_add_co_ci_u32_e32 v11, vcc_lo, v11, v13, vcc_lo
	s_delay_alu instid0(VALU_DEP_2) | instskip(SKIP_1) | instid1(VALU_DEP_3)
	v_mul_hi_u32 v12, s3, v3
	v_mul_lo_u32 v14, s21, v3
	v_mul_lo_u32 v13, s3, v11
	s_delay_alu instid0(VALU_DEP_1) | instskip(SKIP_1) | instid1(VALU_DEP_2)
	v_add_nc_u32_e32 v12, v12, v13
	v_mul_lo_u32 v13, s3, v3
	v_add_nc_u32_e32 v12, v12, v14
	s_delay_alu instid0(VALU_DEP_2) | instskip(NEXT) | instid1(VALU_DEP_2)
	v_mul_hi_u32 v14, v3, v13
	v_mul_lo_u32 v15, v3, v12
	v_mul_hi_u32 v16, v3, v12
	v_mul_hi_u32 v18, v11, v13
	v_mul_lo_u32 v13, v11, v13
	v_mul_hi_u32 v19, v11, v12
	v_mul_lo_u32 v12, v11, v12
	v_add_co_u32 v14, vcc_lo, v14, v15
	v_add_co_ci_u32_e32 v15, vcc_lo, 0, v16, vcc_lo
	s_delay_alu instid0(VALU_DEP_2) | instskip(NEXT) | instid1(VALU_DEP_2)
	v_add_co_u32 v13, vcc_lo, v14, v13
	v_add_co_ci_u32_e32 v13, vcc_lo, v15, v18, vcc_lo
	v_add_co_ci_u32_e32 v14, vcc_lo, 0, v19, vcc_lo
	v_add_co_u32 v8, vcc_lo, v8, v17
	v_add_co_ci_u32_e32 v9, vcc_lo, v9, v17, vcc_lo
	s_delay_alu instid0(VALU_DEP_4) | instskip(NEXT) | instid1(VALU_DEP_4)
	v_add_co_u32 v12, vcc_lo, v13, v12
	v_add_co_ci_u32_e32 v13, vcc_lo, 0, v14, vcc_lo
	s_delay_alu instid0(VALU_DEP_4) | instskip(NEXT) | instid1(VALU_DEP_3)
	v_xor_b32_e32 v15, v8, v17
	v_add_co_u32 v3, vcc_lo, v3, v12
	s_delay_alu instid0(VALU_DEP_3) | instskip(SKIP_1) | instid1(VALU_DEP_3)
	v_add_co_ci_u32_e32 v16, vcc_lo, v11, v13, vcc_lo
	v_xor_b32_e32 v18, v9, v17
	v_mul_hi_u32 v19, v15, v3
	s_delay_alu instid0(VALU_DEP_3) | instskip(NEXT) | instid1(VALU_DEP_3)
	v_mad_u64_u32 v[8:9], null, v15, v16, 0
	v_mad_u64_u32 v[11:12], null, v18, v3, 0
	;; [unrolled: 1-line block ×3, first 2 shown]
	s_delay_alu instid0(VALU_DEP_3) | instskip(NEXT) | instid1(VALU_DEP_4)
	v_add_co_u32 v3, vcc_lo, v19, v8
	v_add_co_ci_u32_e32 v8, vcc_lo, 0, v9, vcc_lo
	s_delay_alu instid0(VALU_DEP_2) | instskip(NEXT) | instid1(VALU_DEP_2)
	v_add_co_u32 v3, vcc_lo, v3, v11
	v_add_co_ci_u32_e32 v3, vcc_lo, v8, v12, vcc_lo
	v_add_co_ci_u32_e32 v8, vcc_lo, 0, v14, vcc_lo
	s_delay_alu instid0(VALU_DEP_2) | instskip(NEXT) | instid1(VALU_DEP_2)
	v_add_co_u32 v3, vcc_lo, v3, v13
	v_add_co_ci_u32_e32 v11, vcc_lo, 0, v8, vcc_lo
	s_delay_alu instid0(VALU_DEP_2) | instskip(SKIP_1) | instid1(VALU_DEP_3)
	v_mul_lo_u32 v12, s25, v3
	v_mad_u64_u32 v[8:9], null, s24, v3, 0
	v_mul_lo_u32 v11, s24, v11
	s_delay_alu instid0(VALU_DEP_2) | instskip(NEXT) | instid1(VALU_DEP_2)
	v_sub_co_u32 v8, vcc_lo, v15, v8
	v_add3_u32 v9, v9, v11, v12
	v_add_co_u32 v12, s3, v3, 2
	s_delay_alu instid0(VALU_DEP_2) | instskip(NEXT) | instid1(VALU_DEP_1)
	v_sub_nc_u32_e32 v11, v18, v9
	v_subrev_co_ci_u32_e64 v11, s3, s25, v11, vcc_lo
	v_sub_co_u32 v13, s3, v8, s24
	v_sub_co_ci_u32_e32 v9, vcc_lo, v18, v9, vcc_lo
	s_delay_alu instid0(VALU_DEP_3) | instskip(NEXT) | instid1(VALU_DEP_3)
	v_subrev_co_ci_u32_e64 v11, s3, 0, v11, s3
	v_cmp_le_u32_e32 vcc_lo, s24, v13
	v_cndmask_b32_e64 v13, 0, -1, vcc_lo
	s_delay_alu instid0(VALU_DEP_3)
	v_cmp_le_u32_e32 vcc_lo, s25, v11
	v_cndmask_b32_e64 v14, 0, -1, vcc_lo
	v_cmp_le_u32_e32 vcc_lo, s24, v8
	v_cndmask_b32_e64 v8, 0, -1, vcc_lo
	;; [unrolled: 2-line block ×3, first 2 shown]
	v_cmp_eq_u32_e32 vcc_lo, s25, v11
	v_cndmask_b32_e32 v11, v14, v13, vcc_lo
	v_add_co_u32 v13, vcc_lo, v3, 1
	v_cmp_eq_u32_e32 vcc_lo, s25, v9
	v_cndmask_b32_e32 v8, v15, v8, vcc_lo
	s_delay_alu instid0(VALU_DEP_4) | instskip(NEXT) | instid1(VALU_DEP_4)
	v_cmp_ne_u32_e32 vcc_lo, 0, v11
	v_cndmask_b32_e32 v9, v13, v12, vcc_lo
	s_delay_alu instid0(VALU_DEP_3) | instskip(SKIP_1) | instid1(VALU_DEP_3)
	v_cmp_ne_u32_e32 vcc_lo, 0, v8
	v_xor_b32_e32 v8, s22, v17
	v_cndmask_b32_e32 v3, v3, v9, vcc_lo
	s_delay_alu instid0(VALU_DEP_1) | instskip(NEXT) | instid1(VALU_DEP_1)
	v_xor_b32_e32 v3, v3, v8
	v_sub_co_u32 v14, vcc_lo, v3, v8
                                        ; implicit-def: $vgpr8_vgpr9
.LBB10_33:                              ;   in Loop: Header=BB10_27 Depth=2
	s_and_not1_saveexec_b32 s3, s4
	s_cbranch_execz .LBB10_35
; %bb.34:                               ;   in Loop: Header=BB10_27 Depth=2
	v_rcp_iflag_f32_e32 v3, v0
	s_sub_i32 s4, 0, s40
	s_waitcnt_depctr 0xfff
	v_mul_f32_e32 v3, 0x4f7ffffe, v3
	s_delay_alu instid0(VALU_DEP_1) | instskip(NEXT) | instid1(VALU_DEP_1)
	v_cvt_u32_f32_e32 v3, v3
	v_mul_lo_u32 v9, s4, v3
	s_delay_alu instid0(VALU_DEP_1) | instskip(NEXT) | instid1(VALU_DEP_1)
	v_mul_hi_u32 v9, v3, v9
	v_add_nc_u32_e32 v3, v3, v9
	s_delay_alu instid0(VALU_DEP_1) | instskip(NEXT) | instid1(VALU_DEP_1)
	v_mul_hi_u32 v3, v8, v3
	v_mul_lo_u32 v9, v3, s40
	s_delay_alu instid0(VALU_DEP_1) | instskip(SKIP_1) | instid1(VALU_DEP_2)
	v_sub_nc_u32_e32 v8, v8, v9
	v_add_nc_u32_e32 v9, 1, v3
	v_subrev_nc_u32_e32 v11, s40, v8
	v_cmp_le_u32_e32 vcc_lo, s40, v8
	s_delay_alu instid0(VALU_DEP_2) | instskip(NEXT) | instid1(VALU_DEP_1)
	v_dual_cndmask_b32 v8, v8, v11 :: v_dual_cndmask_b32 v3, v3, v9
	v_cmp_le_u32_e32 vcc_lo, s40, v8
	s_delay_alu instid0(VALU_DEP_2) | instskip(NEXT) | instid1(VALU_DEP_1)
	v_add_nc_u32_e32 v9, 1, v3
	v_cndmask_b32_e32 v14, v3, v9, vcc_lo
.LBB10_35:                              ;   in Loop: Header=BB10_27 Depth=2
	s_or_b32 exec_lo, exec_lo, s3
	v_add_co_u32 v3, s3, v6, 1
	s_delay_alu instid0(VALU_DEP_1) | instskip(SKIP_1) | instid1(VALU_DEP_2)
	v_add_co_ci_u32_e64 v8, null, 0, 0, s3
	s_mov_b32 s3, exec_lo
	v_mul_lo_u32 v11, v3, s46
	s_delay_alu instid0(VALU_DEP_2) | instskip(SKIP_1) | instid1(VALU_DEP_1)
	v_mul_lo_u32 v12, v8, s42
	v_mad_u64_u32 v[8:9], null, v3, s42, -1
	v_add3_u32 v9, v12, v9, v11
                                        ; implicit-def: $vgpr11_vgpr12
	s_delay_alu instid0(VALU_DEP_1) | instskip(NEXT) | instid1(VALU_DEP_1)
	v_or_b32_e32 v3, s33, v9
	v_cmpx_ne_u64_e32 0, v[2:3]
	s_xor_b32 s4, exec_lo, s3
	s_cbranch_execnz .LBB10_38
; %bb.36:                               ;   in Loop: Header=BB10_27 Depth=2
	s_and_not1_saveexec_b32 s3, s4
	s_cbranch_execnz .LBB10_39
.LBB10_37:                              ;   in Loop: Header=BB10_27 Depth=2
	s_or_b32 exec_lo, exec_lo, s3
	s_delay_alu instid0(SALU_CYCLE_1)
	s_and_not1_b32 vcc_lo, exec_lo, s1
	s_cbranch_vccnz .LBB10_26
	s_branch .LBB10_40
.LBB10_38:                              ;   in Loop: Header=BB10_27 Depth=2
	s_add_u32 s24, s40, s33
	s_mov_b32 s22, s33
	s_mov_b32 s23, s33
	s_addc_u32 s25, s33, s33
	s_delay_alu instid0(SALU_CYCLE_1) | instskip(NEXT) | instid1(SALU_CYCLE_1)
	s_xor_b64 s[24:25], s[24:25], s[22:23]
	v_cvt_f32_u32_e32 v0, s24
	v_cvt_f32_u32_e32 v3, s25
	s_sub_u32 s3, 0, s24
	s_subb_u32 s21, 0, s25
	s_delay_alu instid0(VALU_DEP_1) | instskip(NEXT) | instid1(VALU_DEP_1)
	v_fmac_f32_e32 v0, 0x4f800000, v3
	v_rcp_f32_e32 v0, v0
	s_waitcnt_depctr 0xfff
	v_mul_f32_e32 v0, 0x5f7ffffc, v0
	s_delay_alu instid0(VALU_DEP_1) | instskip(NEXT) | instid1(VALU_DEP_1)
	v_mul_f32_e32 v3, 0x2f800000, v0
	v_trunc_f32_e32 v3, v3
	s_delay_alu instid0(VALU_DEP_1) | instskip(SKIP_1) | instid1(VALU_DEP_2)
	v_fmac_f32_e32 v0, 0xcf800000, v3
	v_cvt_u32_f32_e32 v3, v3
	v_cvt_u32_f32_e32 v0, v0
	s_delay_alu instid0(VALU_DEP_2) | instskip(NEXT) | instid1(VALU_DEP_2)
	v_mul_lo_u32 v11, s3, v3
	v_mul_hi_u32 v12, s3, v0
	v_mul_lo_u32 v13, s21, v0
	s_delay_alu instid0(VALU_DEP_2) | instskip(SKIP_1) | instid1(VALU_DEP_2)
	v_add_nc_u32_e32 v11, v12, v11
	v_mul_lo_u32 v12, s3, v0
	v_add_nc_u32_e32 v11, v11, v13
	s_delay_alu instid0(VALU_DEP_2) | instskip(NEXT) | instid1(VALU_DEP_2)
	v_mul_hi_u32 v13, v0, v12
	v_mul_lo_u32 v15, v0, v11
	v_mul_hi_u32 v16, v0, v11
	v_mul_hi_u32 v17, v3, v12
	v_mul_lo_u32 v12, v3, v12
	v_mul_hi_u32 v18, v3, v11
	v_mul_lo_u32 v11, v3, v11
	v_add_co_u32 v13, vcc_lo, v13, v15
	v_add_co_ci_u32_e32 v15, vcc_lo, 0, v16, vcc_lo
	s_delay_alu instid0(VALU_DEP_2) | instskip(NEXT) | instid1(VALU_DEP_2)
	v_add_co_u32 v12, vcc_lo, v13, v12
	v_add_co_ci_u32_e32 v12, vcc_lo, v15, v17, vcc_lo
	v_add_co_ci_u32_e32 v13, vcc_lo, 0, v18, vcc_lo
	v_ashrrev_i32_e32 v17, 31, v9
	s_delay_alu instid0(VALU_DEP_3) | instskip(NEXT) | instid1(VALU_DEP_3)
	v_add_co_u32 v11, vcc_lo, v12, v11
	v_add_co_ci_u32_e32 v12, vcc_lo, 0, v13, vcc_lo
	s_delay_alu instid0(VALU_DEP_2) | instskip(NEXT) | instid1(VALU_DEP_2)
	v_add_co_u32 v0, vcc_lo, v0, v11
	v_add_co_ci_u32_e32 v3, vcc_lo, v3, v12, vcc_lo
	s_delay_alu instid0(VALU_DEP_2) | instskip(SKIP_1) | instid1(VALU_DEP_3)
	v_mul_hi_u32 v11, s3, v0
	v_mul_lo_u32 v13, s21, v0
	v_mul_lo_u32 v12, s3, v3
	s_delay_alu instid0(VALU_DEP_1) | instskip(SKIP_1) | instid1(VALU_DEP_2)
	v_add_nc_u32_e32 v11, v11, v12
	v_mul_lo_u32 v12, s3, v0
	v_add_nc_u32_e32 v11, v11, v13
	s_delay_alu instid0(VALU_DEP_2) | instskip(NEXT) | instid1(VALU_DEP_2)
	v_mul_hi_u32 v13, v0, v12
	v_mul_lo_u32 v15, v0, v11
	v_mul_hi_u32 v16, v0, v11
	v_mul_hi_u32 v18, v3, v12
	v_mul_lo_u32 v12, v3, v12
	v_mul_hi_u32 v19, v3, v11
	v_mul_lo_u32 v11, v3, v11
	v_add_co_u32 v13, vcc_lo, v13, v15
	v_add_co_ci_u32_e32 v15, vcc_lo, 0, v16, vcc_lo
	s_delay_alu instid0(VALU_DEP_2) | instskip(NEXT) | instid1(VALU_DEP_2)
	v_add_co_u32 v12, vcc_lo, v13, v12
	v_add_co_ci_u32_e32 v12, vcc_lo, v15, v18, vcc_lo
	v_add_co_ci_u32_e32 v13, vcc_lo, 0, v19, vcc_lo
	v_add_co_u32 v8, vcc_lo, v8, v17
	v_add_co_ci_u32_e32 v9, vcc_lo, v9, v17, vcc_lo
	s_delay_alu instid0(VALU_DEP_4) | instskip(NEXT) | instid1(VALU_DEP_4)
	v_add_co_u32 v11, vcc_lo, v12, v11
	v_add_co_ci_u32_e32 v12, vcc_lo, 0, v13, vcc_lo
	s_delay_alu instid0(VALU_DEP_4) | instskip(NEXT) | instid1(VALU_DEP_3)
	v_xor_b32_e32 v13, v8, v17
	v_add_co_u32 v0, vcc_lo, v0, v11
	s_delay_alu instid0(VALU_DEP_3) | instskip(SKIP_1) | instid1(VALU_DEP_3)
	v_add_co_ci_u32_e32 v3, vcc_lo, v3, v12, vcc_lo
	v_xor_b32_e32 v18, v9, v17
	v_mul_hi_u32 v19, v13, v0
	s_delay_alu instid0(VALU_DEP_3) | instskip(NEXT) | instid1(VALU_DEP_3)
	v_mad_u64_u32 v[8:9], null, v13, v3, 0
	v_mad_u64_u32 v[11:12], null, v18, v0, 0
	;; [unrolled: 1-line block ×3, first 2 shown]
	s_delay_alu instid0(VALU_DEP_3) | instskip(NEXT) | instid1(VALU_DEP_4)
	v_add_co_u32 v0, vcc_lo, v19, v8
	v_add_co_ci_u32_e32 v3, vcc_lo, 0, v9, vcc_lo
	s_delay_alu instid0(VALU_DEP_2) | instskip(NEXT) | instid1(VALU_DEP_2)
	v_add_co_u32 v0, vcc_lo, v0, v11
	v_add_co_ci_u32_e32 v0, vcc_lo, v3, v12, vcc_lo
	v_add_co_ci_u32_e32 v3, vcc_lo, 0, v16, vcc_lo
	s_delay_alu instid0(VALU_DEP_2) | instskip(NEXT) | instid1(VALU_DEP_2)
	v_add_co_u32 v0, vcc_lo, v0, v15
	v_add_co_ci_u32_e32 v3, vcc_lo, 0, v3, vcc_lo
	s_delay_alu instid0(VALU_DEP_2) | instskip(SKIP_1) | instid1(VALU_DEP_3)
	v_mul_lo_u32 v11, s25, v0
	v_mad_u64_u32 v[8:9], null, s24, v0, 0
	v_mul_lo_u32 v3, s24, v3
	s_delay_alu instid0(VALU_DEP_2) | instskip(NEXT) | instid1(VALU_DEP_2)
	v_sub_co_u32 v8, vcc_lo, v13, v8
	v_add3_u32 v3, v9, v3, v11
	v_add_co_u32 v11, s3, v0, 2
	s_delay_alu instid0(VALU_DEP_2) | instskip(NEXT) | instid1(VALU_DEP_1)
	v_sub_nc_u32_e32 v9, v18, v3
	v_subrev_co_ci_u32_e64 v9, s3, s25, v9, vcc_lo
	v_sub_co_u32 v12, s3, v8, s24
	v_sub_co_ci_u32_e32 v3, vcc_lo, v18, v3, vcc_lo
	s_delay_alu instid0(VALU_DEP_3) | instskip(NEXT) | instid1(VALU_DEP_3)
	v_subrev_co_ci_u32_e64 v9, s3, 0, v9, s3
	v_cmp_le_u32_e32 vcc_lo, s24, v12
	v_cndmask_b32_e64 v12, 0, -1, vcc_lo
	s_delay_alu instid0(VALU_DEP_3)
	v_cmp_le_u32_e32 vcc_lo, s25, v9
	v_cndmask_b32_e64 v13, 0, -1, vcc_lo
	v_cmp_le_u32_e32 vcc_lo, s24, v8
	v_cndmask_b32_e64 v8, 0, -1, vcc_lo
	;; [unrolled: 2-line block ×3, first 2 shown]
	v_cmp_eq_u32_e32 vcc_lo, s25, v9
	v_cndmask_b32_e32 v9, v13, v12, vcc_lo
	v_add_co_u32 v12, vcc_lo, v0, 1
	v_cmp_eq_u32_e32 vcc_lo, s25, v3
	v_cndmask_b32_e32 v3, v15, v8, vcc_lo
	s_delay_alu instid0(VALU_DEP_4) | instskip(NEXT) | instid1(VALU_DEP_4)
	v_cmp_ne_u32_e32 vcc_lo, 0, v9
	v_cndmask_b32_e32 v8, v12, v11, vcc_lo
	s_delay_alu instid0(VALU_DEP_3) | instskip(SKIP_1) | instid1(VALU_DEP_3)
	v_cmp_ne_u32_e32 vcc_lo, 0, v3
	v_xor_b32_e32 v3, s22, v17
	v_cndmask_b32_e32 v0, v0, v8, vcc_lo
                                        ; implicit-def: $vgpr8_vgpr9
	s_delay_alu instid0(VALU_DEP_1) | instskip(NEXT) | instid1(VALU_DEP_1)
	v_xor_b32_e32 v0, v0, v3
	v_sub_co_u32 v11, vcc_lo, v0, v3
                                        ; implicit-def: $vgpr0
	s_and_not1_saveexec_b32 s3, s4
	s_cbranch_execz .LBB10_37
.LBB10_39:                              ;   in Loop: Header=BB10_27 Depth=2
	v_rcp_iflag_f32_e32 v0, v0
	s_sub_i32 s4, 0, s40
	s_waitcnt_depctr 0xfff
	v_mul_f32_e32 v0, 0x4f7ffffe, v0
	s_delay_alu instid0(VALU_DEP_1) | instskip(NEXT) | instid1(VALU_DEP_1)
	v_cvt_u32_f32_e32 v0, v0
	v_mul_lo_u32 v3, s4, v0
	s_delay_alu instid0(VALU_DEP_1) | instskip(NEXT) | instid1(VALU_DEP_1)
	v_mul_hi_u32 v3, v0, v3
	v_add_nc_u32_e32 v0, v0, v3
	s_delay_alu instid0(VALU_DEP_1) | instskip(NEXT) | instid1(VALU_DEP_1)
	v_mul_hi_u32 v0, v8, v0
	v_mul_lo_u32 v3, v0, s40
	s_delay_alu instid0(VALU_DEP_1) | instskip(SKIP_1) | instid1(VALU_DEP_2)
	v_sub_nc_u32_e32 v3, v8, v3
	v_add_nc_u32_e32 v8, 1, v0
	v_subrev_nc_u32_e32 v9, s40, v3
	v_cmp_le_u32_e32 vcc_lo, s40, v3
	s_delay_alu instid0(VALU_DEP_2) | instskip(NEXT) | instid1(VALU_DEP_1)
	v_dual_cndmask_b32 v3, v3, v9 :: v_dual_cndmask_b32 v0, v0, v8
	v_cmp_le_u32_e32 vcc_lo, s40, v3
	s_delay_alu instid0(VALU_DEP_2) | instskip(NEXT) | instid1(VALU_DEP_1)
	v_add_nc_u32_e32 v8, 1, v0
	v_cndmask_b32_e32 v11, v0, v8, vcc_lo
	s_or_b32 exec_lo, exec_lo, s3
	s_delay_alu instid0(SALU_CYCLE_1)
	s_and_not1_b32 vcc_lo, exec_lo, s1
	s_cbranch_vccnz .LBB10_26
.LBB10_40:                              ;   in Loop: Header=BB10_27 Depth=2
	v_mad_u64_u32 v[8:9], null, v10, s42, v[14:15]
	v_lshlrev_b64 v[15:16], 1, v[6:7]
	v_add_nc_u32_e32 v36, 1, v11
	v_add_nc_u32_e32 v7, v5, v10
	s_mov_b64 s[22:23], s[14:15]
	s_mov_b32 s24, s16
	s_delay_alu instid0(VALU_DEP_4) | instskip(SKIP_2) | instid1(VALU_DEP_3)
	v_ashrrev_i32_e32 v9, 31, v8
	v_add_co_u32 v0, vcc_lo, v8, 1
	v_mad_u64_u32 v[12:13], null, s9, v7, v[14:15]
	v_add_co_ci_u32_e32 v3, vcc_lo, 0, v9, vcc_lo
	s_delay_alu instid0(VALU_DEP_3) | instskip(SKIP_1) | instid1(VALU_DEP_3)
	v_mul_lo_u32 v17, s33, v0
	v_mad_u64_u32 v[10:11], null, s40, v0, -1
	v_mul_lo_u32 v3, s40, v3
	v_add_co_u32 v13, vcc_lo, v34, v15
	v_add_co_ci_u32_e32 v14, vcc_lo, v35, v16, vcc_lo
	v_cmp_gt_i32_e64 s3, v36, v8
	s_delay_alu instid0(VALU_DEP_4)
	v_add3_u32 v11, v17, v11, v3
	s_branch .LBB10_42
.LBB10_41:                              ;   in Loop: Header=BB10_42 Depth=3
	s_or_b32 exec_lo, exec_lo, s21
	s_add_i32 s24, s24, 1
	s_add_u32 s22, s22, s18
	v_cmp_lt_i32_e32 vcc_lo, s24, v29
	s_addc_u32 s23, s23, s19
	s_cbranch_vccz .LBB10_26
.LBB10_42:                              ;   Parent Loop BB10_12 Depth=1
                                        ;     Parent Loop BB10_27 Depth=2
                                        ; =>    This Loop Header: Depth=3
                                        ;         Child Loop BB10_54 Depth 4
                                        ;           Child Loop BB10_69 Depth 5
	s_ashr_i32 s25, s24, 31
	s_add_u32 s4, s24, 1
	s_addc_u32 s27, s25, 0
	s_mul_i32 s21, s4, s11
	s_mul_hi_u32 s26, s4, s10
	s_mul_i32 s27, s27, s10
	s_add_i32 s21, s26, s21
	s_mul_i32 s4, s4, s10
	s_add_i32 s21, s21, s27
	s_add_u32 s26, s4, -1
	s_addc_u32 s27, s21, -1
	s_delay_alu instid0(SALU_CYCLE_1) | instskip(NEXT) | instid1(SALU_CYCLE_1)
	s_or_b64 s[28:29], s[26:27], s[12:13]
	s_mov_b32 s21, s29
	s_delay_alu instid0(SALU_CYCLE_1)
	s_cmp_lg_u64 s[20:21], 0
	s_cbranch_scc0 .LBB10_81
; %bb.43:                               ;   in Loop: Header=BB10_42 Depth=3
	s_add_u32 s30, s12, s13
	s_mov_b32 s28, s13
	s_mov_b32 s29, s13
	s_addc_u32 s31, s13, s13
	s_delay_alu instid0(SALU_CYCLE_1) | instskip(NEXT) | instid1(SALU_CYCLE_1)
	s_xor_b64 s[30:31], s[30:31], s[28:29]
	v_cvt_f32_u32_e32 v0, s30
	v_cvt_f32_u32_e32 v3, s31
	s_sub_u32 s4, 0, s30
	s_subb_u32 s21, 0, s31
	s_ashr_i32 s34, s27, 31
	s_delay_alu instid0(VALU_DEP_1)
	v_fmac_f32_e32 v0, 0x4f800000, v3
	s_add_u32 s50, s26, s34
	s_mov_b32 s35, s34
	s_addc_u32 s51, s27, s34
	s_xor_b64 s[28:29], s[34:35], s[28:29]
	v_rcp_f32_e32 v0, v0
	s_xor_b64 s[50:51], s[50:51], s[34:35]
	s_waitcnt_depctr 0xfff
	v_mul_f32_e32 v0, 0x5f7ffffc, v0
	s_delay_alu instid0(VALU_DEP_1) | instskip(NEXT) | instid1(VALU_DEP_1)
	v_mul_f32_e32 v3, 0x2f800000, v0
	v_trunc_f32_e32 v3, v3
	s_delay_alu instid0(VALU_DEP_1) | instskip(SKIP_1) | instid1(VALU_DEP_2)
	v_fmac_f32_e32 v0, 0xcf800000, v3
	v_cvt_u32_f32_e32 v3, v3
	v_cvt_u32_f32_e32 v0, v0
	s_delay_alu instid0(VALU_DEP_2) | instskip(NEXT) | instid1(VALU_DEP_2)
	v_mul_lo_u32 v7, s4, v3
	v_mul_hi_u32 v15, s4, v0
	v_mul_lo_u32 v16, s21, v0
	s_delay_alu instid0(VALU_DEP_2) | instskip(SKIP_1) | instid1(VALU_DEP_2)
	v_add_nc_u32_e32 v7, v15, v7
	v_mul_lo_u32 v15, s4, v0
	v_add_nc_u32_e32 v7, v7, v16
	s_delay_alu instid0(VALU_DEP_2) | instskip(NEXT) | instid1(VALU_DEP_2)
	v_mul_hi_u32 v16, v0, v15
	v_mul_lo_u32 v17, v0, v7
	v_mul_hi_u32 v18, v0, v7
	v_mul_hi_u32 v19, v3, v15
	v_mul_lo_u32 v15, v3, v15
	v_mul_hi_u32 v20, v3, v7
	v_mul_lo_u32 v7, v3, v7
	v_add_co_u32 v16, vcc_lo, v16, v17
	v_add_co_ci_u32_e32 v17, vcc_lo, 0, v18, vcc_lo
	s_delay_alu instid0(VALU_DEP_2) | instskip(NEXT) | instid1(VALU_DEP_2)
	v_add_co_u32 v15, vcc_lo, v16, v15
	v_add_co_ci_u32_e32 v15, vcc_lo, v17, v19, vcc_lo
	v_add_co_ci_u32_e32 v16, vcc_lo, 0, v20, vcc_lo
	s_delay_alu instid0(VALU_DEP_2) | instskip(NEXT) | instid1(VALU_DEP_2)
	v_add_co_u32 v7, vcc_lo, v15, v7
	v_add_co_ci_u32_e32 v15, vcc_lo, 0, v16, vcc_lo
	s_delay_alu instid0(VALU_DEP_2) | instskip(NEXT) | instid1(VALU_DEP_2)
	v_add_co_u32 v0, vcc_lo, v0, v7
	v_add_co_ci_u32_e32 v3, vcc_lo, v3, v15, vcc_lo
	s_delay_alu instid0(VALU_DEP_2) | instskip(SKIP_1) | instid1(VALU_DEP_3)
	v_mul_hi_u32 v7, s4, v0
	v_mul_lo_u32 v16, s21, v0
	v_mul_lo_u32 v15, s4, v3
	s_delay_alu instid0(VALU_DEP_1) | instskip(SKIP_1) | instid1(VALU_DEP_2)
	v_add_nc_u32_e32 v7, v7, v15
	v_mul_lo_u32 v15, s4, v0
	v_add_nc_u32_e32 v7, v7, v16
	s_delay_alu instid0(VALU_DEP_2) | instskip(NEXT) | instid1(VALU_DEP_2)
	v_mul_hi_u32 v16, v0, v15
	v_mul_lo_u32 v17, v0, v7
	v_mul_hi_u32 v18, v0, v7
	v_mul_hi_u32 v19, v3, v15
	v_mul_lo_u32 v15, v3, v15
	v_mul_hi_u32 v20, v3, v7
	v_mul_lo_u32 v7, v3, v7
	v_add_co_u32 v16, vcc_lo, v16, v17
	v_add_co_ci_u32_e32 v17, vcc_lo, 0, v18, vcc_lo
	s_delay_alu instid0(VALU_DEP_2) | instskip(NEXT) | instid1(VALU_DEP_2)
	v_add_co_u32 v15, vcc_lo, v16, v15
	v_add_co_ci_u32_e32 v15, vcc_lo, v17, v19, vcc_lo
	v_add_co_ci_u32_e32 v16, vcc_lo, 0, v20, vcc_lo
	s_delay_alu instid0(VALU_DEP_2) | instskip(NEXT) | instid1(VALU_DEP_2)
	v_add_co_u32 v7, vcc_lo, v15, v7
	v_add_co_ci_u32_e32 v15, vcc_lo, 0, v16, vcc_lo
	s_delay_alu instid0(VALU_DEP_2) | instskip(NEXT) | instid1(VALU_DEP_2)
	v_add_co_u32 v0, vcc_lo, v0, v7
	v_add_co_ci_u32_e32 v3, vcc_lo, v3, v15, vcc_lo
	s_delay_alu instid0(VALU_DEP_2) | instskip(SKIP_1) | instid1(VALU_DEP_3)
	v_mul_hi_u32 v7, s50, v0
	v_mul_hi_u32 v17, s51, v0
	v_mul_lo_u32 v15, s50, v3
	v_mul_hi_u32 v16, s50, v3
	v_mul_lo_u32 v0, s51, v0
	;; [unrolled: 2-line block ×3, first 2 shown]
	v_add_co_u32 v7, vcc_lo, v7, v15
	v_add_co_ci_u32_e32 v15, vcc_lo, 0, v16, vcc_lo
	s_delay_alu instid0(VALU_DEP_2) | instskip(NEXT) | instid1(VALU_DEP_2)
	v_add_co_u32 v0, vcc_lo, v7, v0
	v_add_co_ci_u32_e32 v0, vcc_lo, v15, v17, vcc_lo
	v_add_co_ci_u32_e32 v7, vcc_lo, 0, v18, vcc_lo
	s_delay_alu instid0(VALU_DEP_2) | instskip(NEXT) | instid1(VALU_DEP_2)
	v_add_co_u32 v0, vcc_lo, v0, v3
	v_add_co_ci_u32_e32 v3, vcc_lo, 0, v7, vcc_lo
	s_delay_alu instid0(VALU_DEP_2) | instskip(SKIP_1) | instid1(VALU_DEP_3)
	v_mul_hi_u32 v7, s30, v0
	v_mul_lo_u32 v15, s31, v0
	v_mul_lo_u32 v3, s30, v3
	v_add_co_u32 v16, s4, v0, 1
	s_delay_alu instid0(VALU_DEP_2) | instskip(SKIP_1) | instid1(VALU_DEP_2)
	v_add_nc_u32_e32 v3, v7, v3
	v_mul_lo_u32 v7, s30, v0
	v_add_nc_u32_e32 v3, v3, v15
	s_delay_alu instid0(VALU_DEP_2) | instskip(NEXT) | instid1(VALU_DEP_2)
	v_sub_co_u32 v7, vcc_lo, s50, v7
	v_sub_nc_u32_e32 v15, s51, v3
	s_delay_alu instid0(VALU_DEP_1) | instskip(NEXT) | instid1(VALU_DEP_3)
	v_subrev_co_ci_u32_e64 v15, s4, s31, v15, vcc_lo
	v_sub_co_u32 v17, s4, v7, s30
	v_sub_co_ci_u32_e32 v3, vcc_lo, s51, v3, vcc_lo
	s_delay_alu instid0(VALU_DEP_3) | instskip(NEXT) | instid1(VALU_DEP_3)
	v_subrev_co_ci_u32_e64 v15, s4, 0, v15, s4
	v_cmp_le_u32_e32 vcc_lo, s30, v17
	v_cndmask_b32_e64 v17, 0, -1, vcc_lo
	s_delay_alu instid0(VALU_DEP_3)
	v_cmp_le_u32_e32 vcc_lo, s31, v15
	v_cndmask_b32_e64 v18, 0, -1, vcc_lo
	v_cmp_le_u32_e32 vcc_lo, s30, v7
	v_cndmask_b32_e64 v7, 0, -1, vcc_lo
	;; [unrolled: 2-line block ×3, first 2 shown]
	v_cmp_eq_u32_e32 vcc_lo, s31, v15
	v_cndmask_b32_e32 v15, v18, v17, vcc_lo
	v_add_co_u32 v17, vcc_lo, v0, 2
	v_cmp_eq_u32_e32 vcc_lo, s31, v3
	v_cndmask_b32_e32 v3, v19, v7, vcc_lo
	s_delay_alu instid0(VALU_DEP_4) | instskip(NEXT) | instid1(VALU_DEP_4)
	v_cmp_ne_u32_e32 vcc_lo, 0, v15
	v_cndmask_b32_e32 v7, v16, v17, vcc_lo
	s_delay_alu instid0(VALU_DEP_3) | instskip(NEXT) | instid1(VALU_DEP_2)
	v_cmp_ne_u32_e32 vcc_lo, 0, v3
	v_cndmask_b32_e32 v0, v0, v7, vcc_lo
	s_delay_alu instid0(VALU_DEP_1) | instskip(NEXT) | instid1(VALU_DEP_1)
	v_xor_b32_e32 v0, s28, v0
	v_sub_co_u32 v15, vcc_lo, v0, s28
	v_cvt_f32_u32_e32 v0, s12
	s_cbranch_execnz .LBB10_45
.LBB10_44:                              ;   in Loop: Header=BB10_42 Depth=3
	s_delay_alu instid0(VALU_DEP_1) | instskip(SKIP_3) | instid1(VALU_DEP_1)
	v_rcp_iflag_f32_e32 v3, v0
	s_sub_i32 s4, 0, s12
	s_waitcnt_depctr 0xfff
	v_mul_f32_e32 v3, 0x4f7ffffe, v3
	v_cvt_u32_f32_e32 v3, v3
	s_delay_alu instid0(VALU_DEP_1) | instskip(NEXT) | instid1(VALU_DEP_1)
	v_mul_lo_u32 v7, s4, v3
	v_mul_hi_u32 v7, v3, v7
	s_delay_alu instid0(VALU_DEP_1) | instskip(NEXT) | instid1(VALU_DEP_1)
	v_add_nc_u32_e32 v3, v3, v7
	v_mul_hi_u32 v3, s26, v3
	s_delay_alu instid0(VALU_DEP_1) | instskip(SKIP_1) | instid1(VALU_DEP_2)
	v_mul_lo_u32 v7, v3, s12
	v_add_nc_u32_e32 v15, 1, v3
	v_sub_nc_u32_e32 v7, s26, v7
	s_delay_alu instid0(VALU_DEP_1) | instskip(SKIP_1) | instid1(VALU_DEP_2)
	v_subrev_nc_u32_e32 v16, s12, v7
	v_cmp_le_u32_e32 vcc_lo, s12, v7
	v_cndmask_b32_e32 v7, v7, v16, vcc_lo
	v_cndmask_b32_e32 v3, v3, v15, vcc_lo
	s_delay_alu instid0(VALU_DEP_2) | instskip(NEXT) | instid1(VALU_DEP_2)
	v_cmp_le_u32_e32 vcc_lo, s12, v7
	v_add_nc_u32_e32 v15, 1, v3
	s_delay_alu instid0(VALU_DEP_1)
	v_cndmask_b32_e32 v15, v3, v15, vcc_lo
.LBB10_45:                              ;   in Loop: Header=BB10_42 Depth=3
	s_or_b64 s[26:27], s[24:25], s[12:13]
	s_delay_alu instid0(SALU_CYCLE_1) | instskip(NEXT) | instid1(SALU_CYCLE_1)
	s_mov_b32 s21, s27
	s_cmp_lg_u64 s[20:21], 0
	s_cbranch_scc0 .LBB10_82
; %bb.46:                               ;   in Loop: Header=BB10_42 Depth=3
	s_add_u32 s28, s12, s13
	s_mov_b32 s26, s13
	s_mov_b32 s27, s13
	s_addc_u32 s29, s13, s13
	s_delay_alu instid0(SALU_CYCLE_1) | instskip(NEXT) | instid1(SALU_CYCLE_1)
	s_xor_b64 s[28:29], s[28:29], s[26:27]
	v_cvt_f32_u32_e32 v3, s28
	v_cvt_f32_u32_e32 v7, s29
	s_sub_u32 s30, 0, s28
	s_subb_u32 s31, 0, s29
	s_delay_alu instid0(VALU_DEP_1) | instskip(NEXT) | instid1(VALU_DEP_1)
	v_fmac_f32_e32 v3, 0x4f800000, v7
	v_rcp_f32_e32 v3, v3
	s_waitcnt_depctr 0xfff
	v_mul_f32_e32 v3, 0x5f7ffffc, v3
	s_delay_alu instid0(VALU_DEP_1) | instskip(NEXT) | instid1(VALU_DEP_1)
	v_mul_f32_e32 v7, 0x2f800000, v3
	v_trunc_f32_e32 v7, v7
	s_delay_alu instid0(VALU_DEP_1) | instskip(SKIP_1) | instid1(VALU_DEP_2)
	v_fmac_f32_e32 v3, 0xcf800000, v7
	v_cvt_u32_f32_e32 v7, v7
	v_cvt_u32_f32_e32 v3, v3
	s_delay_alu instid0(VALU_DEP_2) | instskip(NEXT) | instid1(VALU_DEP_2)
	v_readfirstlane_b32 s4, v7
	v_readfirstlane_b32 s21, v3
	s_delay_alu instid0(VALU_DEP_2) | instskip(NEXT) | instid1(VALU_DEP_1)
	s_mul_i32 s34, s30, s4
	s_mul_hi_u32 s50, s30, s21
	s_mul_i32 s35, s31, s21
	s_add_i32 s34, s50, s34
	s_mul_i32 s51, s30, s21
	s_add_i32 s34, s34, s35
	s_mul_hi_u32 s50, s21, s51
	s_mul_hi_u32 s52, s4, s51
	s_mul_i32 s35, s4, s51
	s_mul_hi_u32 s51, s21, s34
	s_mul_i32 s21, s21, s34
	s_mul_hi_u32 s53, s4, s34
	s_add_u32 s21, s50, s21
	s_addc_u32 s50, 0, s51
	s_add_u32 s21, s21, s35
	s_mul_i32 s34, s4, s34
	s_addc_u32 s21, s50, s52
	s_addc_u32 s35, s53, 0
	s_add_u32 s21, s21, s34
	s_addc_u32 s34, 0, s35
	v_add_co_u32 v3, s21, v3, s21
	s_delay_alu instid0(VALU_DEP_1) | instskip(SKIP_1) | instid1(VALU_DEP_1)
	s_cmp_lg_u32 s21, 0
	s_addc_u32 s4, s4, s34
	v_readfirstlane_b32 s21, v3
	s_mul_i32 s34, s30, s4
	s_delay_alu instid0(VALU_DEP_1)
	s_mul_hi_u32 s35, s30, s21
	s_mul_i32 s31, s31, s21
	s_add_i32 s34, s35, s34
	s_mul_i32 s30, s30, s21
	s_add_i32 s34, s34, s31
	s_mul_hi_u32 s35, s4, s30
	s_mul_i32 s50, s4, s30
	s_mul_hi_u32 s30, s21, s30
	s_mul_hi_u32 s51, s21, s34
	s_mul_i32 s21, s21, s34
	s_mul_hi_u32 s31, s4, s34
	s_add_u32 s21, s30, s21
	s_addc_u32 s30, 0, s51
	s_add_u32 s21, s21, s50
	s_mul_i32 s34, s4, s34
	s_addc_u32 s21, s30, s35
	s_addc_u32 s30, s31, 0
	s_add_u32 s21, s21, s34
	s_addc_u32 s30, 0, s30
	v_add_co_u32 v3, s21, v3, s21
	s_delay_alu instid0(VALU_DEP_1) | instskip(SKIP_2) | instid1(VALU_DEP_1)
	s_cmp_lg_u32 s21, 0
	s_addc_u32 s4, s4, s30
	s_ashr_i32 s30, s25, 31
	v_readfirstlane_b32 s21, v3
	s_add_u32 s34, s24, s30
	s_mov_b32 s31, s30
	s_addc_u32 s35, s25, s30
	s_delay_alu instid0(SALU_CYCLE_1) | instskip(NEXT) | instid1(SALU_CYCLE_1)
	s_xor_b64 s[34:35], s[34:35], s[30:31]
	s_mul_i32 s51, s34, s4
	s_mul_hi_u32 s52, s34, s21
	s_mul_hi_u32 s50, s34, s4
	;; [unrolled: 1-line block ×3, first 2 shown]
	s_mul_i32 s21, s35, s21
	s_add_u32 s51, s52, s51
	s_addc_u32 s50, 0, s50
	s_mul_hi_u32 s53, s35, s4
	s_add_u32 s21, s51, s21
	s_mul_i32 s4, s35, s4
	s_addc_u32 s21, s50, s54
	s_addc_u32 s50, s53, 0
	s_add_u32 s4, s21, s4
	s_addc_u32 s21, 0, s50
	s_mul_i32 s53, s28, s4
	s_mul_hi_u32 s50, s28, s4
	s_mul_i32 s52, s28, s21
	v_sub_co_u32 v3, s34, s34, s53
	s_mul_i32 s51, s29, s4
	s_add_i32 s50, s50, s52
	s_delay_alu instid0(SALU_CYCLE_1) | instskip(NEXT) | instid1(VALU_DEP_1)
	s_add_i32 s50, s50, s51
	v_sub_co_u32 v7, s52, v3, s28
	s_sub_i32 s51, s35, s50
	s_cmp_lg_u32 s34, 0
	s_subb_u32 s51, s51, s29
	s_cmp_lg_u32 s52, 0
	v_readfirstlane_b32 s52, v7
	s_subb_u32 s51, s51, 0
	s_delay_alu instid0(SALU_CYCLE_1) | instskip(SKIP_1) | instid1(VALU_DEP_1)
	s_cmp_ge_u32 s51, s29
	s_cselect_b32 s53, -1, 0
	s_cmp_ge_u32 s52, s28
	s_cselect_b32 s52, -1, 0
	s_cmp_eq_u32 s51, s29
	s_cselect_b32 s51, s52, s53
	s_add_u32 s52, s4, 1
	s_addc_u32 s53, s21, 0
	s_add_u32 s54, s4, 2
	s_addc_u32 s55, s21, 0
	s_cmp_lg_u32 s51, 0
	s_cselect_b32 s51, s54, s52
	s_cselect_b32 s52, s55, s53
	s_cmp_lg_u32 s34, 0
	v_readfirstlane_b32 s34, v3
	s_subb_u32 s35, s35, s50
	s_delay_alu instid0(SALU_CYCLE_1) | instskip(SKIP_1) | instid1(VALU_DEP_1)
	s_cmp_ge_u32 s35, s29
	s_cselect_b32 s50, -1, 0
	s_cmp_ge_u32 s34, s28
	s_cselect_b32 s28, -1, 0
	s_cmp_eq_u32 s35, s29
	s_cselect_b32 s28, s28, s50
	s_delay_alu instid0(SALU_CYCLE_1) | instskip(SKIP_3) | instid1(SALU_CYCLE_1)
	s_cmp_lg_u32 s28, 0
	s_cselect_b32 s29, s52, s21
	s_cselect_b32 s28, s51, s4
	s_xor_b64 s[26:27], s[30:31], s[26:27]
	s_xor_b64 s[28:29], s[28:29], s[26:27]
	s_delay_alu instid0(SALU_CYCLE_1)
	s_sub_u32 s26, s28, s26
	s_subb_u32 s27, s29, s27
	s_cbranch_execnz .LBB10_48
.LBB10_47:                              ;   in Loop: Header=BB10_42 Depth=3
	v_rcp_iflag_f32_e32 v3, v0
	s_sub_i32 s21, 0, s12
	s_waitcnt_depctr 0xfff
	v_mul_f32_e32 v3, 0x4f7ffffe, v3
	s_delay_alu instid0(VALU_DEP_1) | instskip(NEXT) | instid1(VALU_DEP_1)
	v_cvt_u32_f32_e32 v3, v3
	v_readfirstlane_b32 s4, v3
	s_delay_alu instid0(VALU_DEP_1) | instskip(NEXT) | instid1(SALU_CYCLE_1)
	s_mul_i32 s21, s21, s4
	s_mul_hi_u32 s21, s4, s21
	s_delay_alu instid0(SALU_CYCLE_1) | instskip(NEXT) | instid1(SALU_CYCLE_1)
	s_add_i32 s4, s4, s21
	s_mul_hi_u32 s4, s24, s4
	s_delay_alu instid0(SALU_CYCLE_1) | instskip(SKIP_2) | instid1(SALU_CYCLE_1)
	s_mul_i32 s21, s4, s12
	s_add_i32 s26, s4, 1
	s_sub_i32 s21, s24, s21
	s_sub_i32 s27, s21, s12
	s_cmp_ge_u32 s21, s12
	s_cselect_b32 s4, s26, s4
	s_cselect_b32 s21, s27, s21
	s_add_i32 s26, s4, 1
	s_cmp_ge_u32 s21, s12
	s_mov_b32 s27, s20
	s_cselect_b32 s26, s26, s4
.LBB10_48:                              ;   in Loop: Header=BB10_42 Depth=3
	s_delay_alu instid0(SALU_CYCLE_1) | instskip(SKIP_1) | instid1(SALU_CYCLE_1)
	s_mul_i32 s4, s26, s13
	s_mul_hi_u32 s21, s26, s12
	s_add_i32 s4, s21, s4
	s_mul_i32 s21, s27, s12
	s_mul_i32 s27, s26, s12
	s_add_i32 s4, s4, s21
	s_sub_u32 s21, s24, s27
	s_subb_u32 s4, s25, s4
	s_mul_i32 s27, s21, s11
	s_mul_hi_u32 s28, s21, s10
	s_mul_i32 s4, s4, s10
	s_add_i32 s25, s28, s27
	s_mul_i32 s28, s21, s10
	s_add_i32 s29, s25, s4
	s_delay_alu instid0(SALU_CYCLE_1) | instskip(NEXT) | instid1(SALU_CYCLE_1)
	s_or_b64 s[30:31], s[28:29], s[12:13]
	s_mov_b32 s21, s31
	s_delay_alu instid0(SALU_CYCLE_1)
	s_cmp_lg_u64 s[20:21], 0
	s_cbranch_scc0 .LBB10_83
; %bb.49:                               ;   in Loop: Header=BB10_42 Depth=3
	s_add_u32 s34, s12, s13
	s_mov_b32 s30, s13
	s_mov_b32 s31, s13
	s_addc_u32 s35, s13, s13
	s_delay_alu instid0(SALU_CYCLE_1) | instskip(NEXT) | instid1(SALU_CYCLE_1)
	s_xor_b64 s[34:35], s[34:35], s[30:31]
	v_cvt_f32_u32_e32 v3, s34
	v_cvt_f32_u32_e32 v7, s35
	s_sub_u32 s4, 0, s34
	s_subb_u32 s21, 0, s35
	s_ashr_i32 s50, s29, 31
	s_delay_alu instid0(VALU_DEP_1)
	v_fmac_f32_e32 v3, 0x4f800000, v7
	s_add_u32 s52, s28, s50
	s_mov_b32 s51, s50
	s_addc_u32 s53, s29, s50
	s_xor_b64 s[30:31], s[50:51], s[30:31]
	v_rcp_f32_e32 v3, v3
	s_xor_b64 s[52:53], s[52:53], s[50:51]
	s_waitcnt_depctr 0xfff
	v_mul_f32_e32 v3, 0x5f7ffffc, v3
	s_delay_alu instid0(VALU_DEP_1) | instskip(NEXT) | instid1(VALU_DEP_1)
	v_mul_f32_e32 v7, 0x2f800000, v3
	v_trunc_f32_e32 v7, v7
	s_delay_alu instid0(VALU_DEP_1) | instskip(SKIP_1) | instid1(VALU_DEP_2)
	v_fmac_f32_e32 v3, 0xcf800000, v7
	v_cvt_u32_f32_e32 v7, v7
	v_cvt_u32_f32_e32 v3, v3
	s_delay_alu instid0(VALU_DEP_2) | instskip(NEXT) | instid1(VALU_DEP_2)
	v_mul_lo_u32 v16, s4, v7
	v_mul_hi_u32 v17, s4, v3
	v_mul_lo_u32 v18, s21, v3
	s_delay_alu instid0(VALU_DEP_2) | instskip(SKIP_1) | instid1(VALU_DEP_2)
	v_add_nc_u32_e32 v16, v17, v16
	v_mul_lo_u32 v17, s4, v3
	v_add_nc_u32_e32 v16, v16, v18
	s_delay_alu instid0(VALU_DEP_2) | instskip(NEXT) | instid1(VALU_DEP_2)
	v_mul_hi_u32 v18, v3, v17
	v_mul_lo_u32 v19, v3, v16
	v_mul_hi_u32 v20, v3, v16
	v_mul_hi_u32 v21, v7, v17
	v_mul_lo_u32 v17, v7, v17
	v_mul_hi_u32 v22, v7, v16
	v_mul_lo_u32 v16, v7, v16
	v_add_co_u32 v18, vcc_lo, v18, v19
	v_add_co_ci_u32_e32 v19, vcc_lo, 0, v20, vcc_lo
	s_delay_alu instid0(VALU_DEP_2) | instskip(NEXT) | instid1(VALU_DEP_2)
	v_add_co_u32 v17, vcc_lo, v18, v17
	v_add_co_ci_u32_e32 v17, vcc_lo, v19, v21, vcc_lo
	v_add_co_ci_u32_e32 v18, vcc_lo, 0, v22, vcc_lo
	s_delay_alu instid0(VALU_DEP_2) | instskip(NEXT) | instid1(VALU_DEP_2)
	v_add_co_u32 v16, vcc_lo, v17, v16
	v_add_co_ci_u32_e32 v17, vcc_lo, 0, v18, vcc_lo
	s_delay_alu instid0(VALU_DEP_2) | instskip(NEXT) | instid1(VALU_DEP_2)
	v_add_co_u32 v3, vcc_lo, v3, v16
	v_add_co_ci_u32_e32 v7, vcc_lo, v7, v17, vcc_lo
	s_delay_alu instid0(VALU_DEP_2) | instskip(SKIP_1) | instid1(VALU_DEP_3)
	v_mul_hi_u32 v16, s4, v3
	v_mul_lo_u32 v18, s21, v3
	v_mul_lo_u32 v17, s4, v7
	s_delay_alu instid0(VALU_DEP_1) | instskip(SKIP_1) | instid1(VALU_DEP_2)
	v_add_nc_u32_e32 v16, v16, v17
	v_mul_lo_u32 v17, s4, v3
	v_add_nc_u32_e32 v16, v16, v18
	s_delay_alu instid0(VALU_DEP_2) | instskip(NEXT) | instid1(VALU_DEP_2)
	v_mul_hi_u32 v18, v3, v17
	v_mul_lo_u32 v19, v3, v16
	v_mul_hi_u32 v20, v3, v16
	v_mul_hi_u32 v21, v7, v17
	v_mul_lo_u32 v17, v7, v17
	v_mul_hi_u32 v22, v7, v16
	v_mul_lo_u32 v16, v7, v16
	v_add_co_u32 v18, vcc_lo, v18, v19
	v_add_co_ci_u32_e32 v19, vcc_lo, 0, v20, vcc_lo
	s_delay_alu instid0(VALU_DEP_2) | instskip(NEXT) | instid1(VALU_DEP_2)
	v_add_co_u32 v17, vcc_lo, v18, v17
	v_add_co_ci_u32_e32 v17, vcc_lo, v19, v21, vcc_lo
	v_add_co_ci_u32_e32 v18, vcc_lo, 0, v22, vcc_lo
	s_delay_alu instid0(VALU_DEP_2) | instskip(NEXT) | instid1(VALU_DEP_2)
	v_add_co_u32 v16, vcc_lo, v17, v16
	v_add_co_ci_u32_e32 v17, vcc_lo, 0, v18, vcc_lo
	s_delay_alu instid0(VALU_DEP_2) | instskip(NEXT) | instid1(VALU_DEP_2)
	v_add_co_u32 v3, vcc_lo, v3, v16
	v_add_co_ci_u32_e32 v7, vcc_lo, v7, v17, vcc_lo
	s_delay_alu instid0(VALU_DEP_2) | instskip(SKIP_1) | instid1(VALU_DEP_3)
	v_mul_hi_u32 v16, s52, v3
	v_mul_hi_u32 v19, s53, v3
	v_mul_lo_u32 v17, s52, v7
	v_mul_hi_u32 v18, s52, v7
	v_mul_lo_u32 v3, s53, v3
	;; [unrolled: 2-line block ×3, first 2 shown]
	v_add_co_u32 v16, vcc_lo, v16, v17
	v_add_co_ci_u32_e32 v17, vcc_lo, 0, v18, vcc_lo
	s_delay_alu instid0(VALU_DEP_2) | instskip(NEXT) | instid1(VALU_DEP_2)
	v_add_co_u32 v3, vcc_lo, v16, v3
	v_add_co_ci_u32_e32 v3, vcc_lo, v17, v19, vcc_lo
	v_add_co_ci_u32_e32 v16, vcc_lo, 0, v20, vcc_lo
	s_delay_alu instid0(VALU_DEP_2) | instskip(NEXT) | instid1(VALU_DEP_2)
	v_add_co_u32 v3, vcc_lo, v3, v7
	v_add_co_ci_u32_e32 v7, vcc_lo, 0, v16, vcc_lo
	s_delay_alu instid0(VALU_DEP_2) | instskip(SKIP_1) | instid1(VALU_DEP_3)
	v_mul_hi_u32 v16, s34, v3
	v_mul_lo_u32 v17, s35, v3
	v_mul_lo_u32 v7, s34, v7
	v_add_co_u32 v18, s4, v3, 1
	s_delay_alu instid0(VALU_DEP_2) | instskip(SKIP_1) | instid1(VALU_DEP_2)
	v_add_nc_u32_e32 v7, v16, v7
	v_mul_lo_u32 v16, s34, v3
	v_add_nc_u32_e32 v7, v7, v17
	s_delay_alu instid0(VALU_DEP_2) | instskip(NEXT) | instid1(VALU_DEP_2)
	v_sub_co_u32 v16, vcc_lo, s52, v16
	v_sub_nc_u32_e32 v17, s53, v7
	s_delay_alu instid0(VALU_DEP_1) | instskip(NEXT) | instid1(VALU_DEP_3)
	v_subrev_co_ci_u32_e64 v17, s4, s35, v17, vcc_lo
	v_sub_co_u32 v19, s4, v16, s34
	v_sub_co_ci_u32_e32 v7, vcc_lo, s53, v7, vcc_lo
	s_delay_alu instid0(VALU_DEP_3) | instskip(NEXT) | instid1(VALU_DEP_3)
	v_subrev_co_ci_u32_e64 v17, s4, 0, v17, s4
	v_cmp_le_u32_e32 vcc_lo, s34, v19
	v_cndmask_b32_e64 v19, 0, -1, vcc_lo
	s_delay_alu instid0(VALU_DEP_3)
	v_cmp_le_u32_e32 vcc_lo, s35, v17
	v_cndmask_b32_e64 v20, 0, -1, vcc_lo
	v_cmp_le_u32_e32 vcc_lo, s34, v16
	v_cndmask_b32_e64 v16, 0, -1, vcc_lo
	;; [unrolled: 2-line block ×3, first 2 shown]
	v_cmp_eq_u32_e32 vcc_lo, s35, v17
	v_cndmask_b32_e32 v17, v20, v19, vcc_lo
	v_add_co_u32 v19, vcc_lo, v3, 2
	v_cmp_eq_u32_e32 vcc_lo, s35, v7
	v_cndmask_b32_e32 v7, v21, v16, vcc_lo
	s_delay_alu instid0(VALU_DEP_4) | instskip(NEXT) | instid1(VALU_DEP_4)
	v_cmp_ne_u32_e32 vcc_lo, 0, v17
	v_cndmask_b32_e32 v16, v18, v19, vcc_lo
	s_delay_alu instid0(VALU_DEP_3) | instskip(NEXT) | instid1(VALU_DEP_2)
	v_cmp_ne_u32_e32 vcc_lo, 0, v7
	v_cndmask_b32_e32 v3, v3, v16, vcc_lo
	s_delay_alu instid0(VALU_DEP_1) | instskip(NEXT) | instid1(VALU_DEP_1)
	v_xor_b32_e32 v3, s30, v3
	v_sub_co_u32 v16, vcc_lo, v3, s30
	s_cbranch_execnz .LBB10_51
.LBB10_50:                              ;   in Loop: Header=BB10_42 Depth=3
	v_rcp_iflag_f32_e32 v0, v0
	s_sub_i32 s4, 0, s12
	s_waitcnt_depctr 0xfff
	v_mul_f32_e32 v0, 0x4f7ffffe, v0
	s_delay_alu instid0(VALU_DEP_1) | instskip(NEXT) | instid1(VALU_DEP_1)
	v_cvt_u32_f32_e32 v0, v0
	v_mul_lo_u32 v3, s4, v0
	s_delay_alu instid0(VALU_DEP_1) | instskip(NEXT) | instid1(VALU_DEP_1)
	v_mul_hi_u32 v3, v0, v3
	v_add_nc_u32_e32 v0, v0, v3
	s_delay_alu instid0(VALU_DEP_1) | instskip(NEXT) | instid1(VALU_DEP_1)
	v_mul_hi_u32 v0, s28, v0
	v_mul_lo_u32 v3, v0, s12
	v_add_nc_u32_e32 v7, 1, v0
	s_delay_alu instid0(VALU_DEP_2) | instskip(NEXT) | instid1(VALU_DEP_1)
	v_sub_nc_u32_e32 v3, s28, v3
	v_subrev_nc_u32_e32 v16, s12, v3
	v_cmp_le_u32_e32 vcc_lo, s12, v3
	s_delay_alu instid0(VALU_DEP_2) | instskip(NEXT) | instid1(VALU_DEP_1)
	v_dual_cndmask_b32 v3, v3, v16 :: v_dual_cndmask_b32 v0, v0, v7
	v_cmp_le_u32_e32 vcc_lo, s12, v3
	s_delay_alu instid0(VALU_DEP_2) | instskip(NEXT) | instid1(VALU_DEP_1)
	v_add_nc_u32_e32 v7, 1, v0
	v_cndmask_b32_e32 v16, v0, v7, vcc_lo
.LBB10_51:                              ;   in Loop: Header=BB10_42 Depth=3
	s_and_saveexec_b32 s21, s2
	s_cbranch_execz .LBB10_41
; %bb.52:                               ;   in Loop: Header=BB10_42 Depth=3
	s_mul_i32 s4, s26, s10
	s_mov_b32 s25, 0
	v_dual_mov_b32 v7, v4 :: v_dual_add_nc_u32 v0, s4, v16
	s_delay_alu instid0(VALU_DEP_1) | instskip(NEXT) | instid1(VALU_DEP_1)
	v_sub_nc_u32_e32 v0, v15, v0
	v_dual_mov_b32 v15, v12 :: v_dual_add_nc_u32 v0, 1, v0
	s_branch .LBB10_54
.LBB10_53:                              ;   in Loop: Header=BB10_54 Depth=4
	s_or_b32 exec_lo, exec_lo, s30
	v_add_nc_u32_e32 v7, 1, v7
	v_add_nc_u32_e32 v15, s9, v15
	s_delay_alu instid0(VALU_DEP_2) | instskip(SKIP_1) | instid1(SALU_CYCLE_1)
	v_cmp_ge_i32_e32 vcc_lo, v7, v33
	s_or_b32 s25, vcc_lo, s25
	s_and_not1_b32 exec_lo, exec_lo, s25
	s_cbranch_execz .LBB10_41
.LBB10_54:                              ;   Parent Loop BB10_12 Depth=1
                                        ;     Parent Loop BB10_27 Depth=2
                                        ;       Parent Loop BB10_42 Depth=3
                                        ; =>      This Loop Header: Depth=4
                                        ;           Child Loop BB10_69 Depth 5
	s_and_saveexec_b32 s30, s3
	s_cbranch_execz .LBB10_53
; %bb.55:                               ;   in Loop: Header=BB10_54 Depth=4
	v_ashrrev_i32_e32 v16, 31, v7
	v_add_co_u32 v3, vcc_lo, v7, 1
	s_mov_b32 s4, exec_lo
	s_delay_alu instid0(VALU_DEP_2) | instskip(NEXT) | instid1(VALU_DEP_2)
	v_add_co_ci_u32_e32 v17, vcc_lo, 0, v16, vcc_lo
	v_mul_lo_u32 v18, v3, s17
	v_mad_u64_u32 v[19:20], null, v3, s37, -1
	s_delay_alu instid0(VALU_DEP_3) | instskip(NEXT) | instid1(VALU_DEP_1)
	v_mul_lo_u32 v17, v17, s37
	v_add3_u32 v20, v17, v20, v18
                                        ; implicit-def: $vgpr17_vgpr18
	s_delay_alu instid0(VALU_DEP_1) | instskip(NEXT) | instid1(VALU_DEP_1)
	v_or_b32_e32 v3, s45, v20
	v_cmpx_ne_u64_e32 0, v[2:3]
	s_xor_b32 s31, exec_lo, s4
	s_cbranch_execz .LBB10_57
; %bb.56:                               ;   in Loop: Header=BB10_54 Depth=4
	s_add_u32 s28, s41, s45
	s_mov_b32 s26, s45
	s_mov_b32 s27, s45
	s_addc_u32 s29, s45, s45
	s_delay_alu instid0(SALU_CYCLE_1) | instskip(NEXT) | instid1(SALU_CYCLE_1)
	s_xor_b64 s[28:29], s[28:29], s[26:27]
	v_cvt_f32_u32_e32 v3, s28
	v_cvt_f32_u32_e32 v17, s29
	s_sub_u32 s4, 0, s28
	s_subb_u32 s27, 0, s29
	s_delay_alu instid0(VALU_DEP_1) | instskip(NEXT) | instid1(VALU_DEP_1)
	v_fmac_f32_e32 v3, 0x4f800000, v17
	v_rcp_f32_e32 v3, v3
	s_waitcnt_depctr 0xfff
	v_mul_f32_e32 v3, 0x5f7ffffc, v3
	s_delay_alu instid0(VALU_DEP_1) | instskip(NEXT) | instid1(VALU_DEP_1)
	v_mul_f32_e32 v17, 0x2f800000, v3
	v_trunc_f32_e32 v17, v17
	s_delay_alu instid0(VALU_DEP_1) | instskip(SKIP_1) | instid1(VALU_DEP_2)
	v_fmac_f32_e32 v3, 0xcf800000, v17
	v_cvt_u32_f32_e32 v17, v17
	v_cvt_u32_f32_e32 v3, v3
	s_delay_alu instid0(VALU_DEP_2) | instskip(NEXT) | instid1(VALU_DEP_2)
	v_mul_lo_u32 v18, s4, v17
	v_mul_hi_u32 v21, s4, v3
	v_mul_lo_u32 v22, s27, v3
	s_delay_alu instid0(VALU_DEP_2) | instskip(SKIP_1) | instid1(VALU_DEP_2)
	v_add_nc_u32_e32 v18, v21, v18
	v_mul_lo_u32 v21, s4, v3
	v_add_nc_u32_e32 v18, v18, v22
	s_delay_alu instid0(VALU_DEP_2) | instskip(NEXT) | instid1(VALU_DEP_2)
	v_mul_hi_u32 v22, v3, v21
	v_mul_lo_u32 v23, v3, v18
	v_mul_hi_u32 v24, v3, v18
	v_mul_hi_u32 v25, v17, v21
	v_mul_lo_u32 v21, v17, v21
	v_mul_hi_u32 v26, v17, v18
	v_mul_lo_u32 v18, v17, v18
	v_add_co_u32 v22, vcc_lo, v22, v23
	v_add_co_ci_u32_e32 v23, vcc_lo, 0, v24, vcc_lo
	s_delay_alu instid0(VALU_DEP_2) | instskip(NEXT) | instid1(VALU_DEP_2)
	v_add_co_u32 v21, vcc_lo, v22, v21
	v_add_co_ci_u32_e32 v21, vcc_lo, v23, v25, vcc_lo
	v_add_co_ci_u32_e32 v22, vcc_lo, 0, v26, vcc_lo
	v_ashrrev_i32_e32 v25, 31, v20
	s_delay_alu instid0(VALU_DEP_3) | instskip(NEXT) | instid1(VALU_DEP_3)
	v_add_co_u32 v18, vcc_lo, v21, v18
	v_add_co_ci_u32_e32 v21, vcc_lo, 0, v22, vcc_lo
	s_delay_alu instid0(VALU_DEP_2) | instskip(NEXT) | instid1(VALU_DEP_2)
	v_add_co_u32 v3, vcc_lo, v3, v18
	v_add_co_ci_u32_e32 v17, vcc_lo, v17, v21, vcc_lo
	s_delay_alu instid0(VALU_DEP_2) | instskip(SKIP_1) | instid1(VALU_DEP_3)
	v_mul_hi_u32 v18, s4, v3
	v_mul_lo_u32 v22, s27, v3
	v_mul_lo_u32 v21, s4, v17
	s_delay_alu instid0(VALU_DEP_1) | instskip(SKIP_1) | instid1(VALU_DEP_2)
	v_add_nc_u32_e32 v18, v18, v21
	v_mul_lo_u32 v21, s4, v3
	v_add_nc_u32_e32 v18, v18, v22
	s_delay_alu instid0(VALU_DEP_2) | instskip(NEXT) | instid1(VALU_DEP_2)
	v_mul_hi_u32 v22, v3, v21
	v_mul_lo_u32 v23, v3, v18
	v_mul_hi_u32 v24, v3, v18
	v_mul_hi_u32 v26, v17, v21
	v_mul_lo_u32 v21, v17, v21
	v_mul_hi_u32 v27, v17, v18
	v_mul_lo_u32 v18, v17, v18
	v_add_co_u32 v22, vcc_lo, v22, v23
	v_add_co_ci_u32_e32 v23, vcc_lo, 0, v24, vcc_lo
	s_delay_alu instid0(VALU_DEP_2) | instskip(NEXT) | instid1(VALU_DEP_2)
	v_add_co_u32 v21, vcc_lo, v22, v21
	v_add_co_ci_u32_e32 v21, vcc_lo, v23, v26, vcc_lo
	v_add_co_ci_u32_e32 v22, vcc_lo, 0, v27, vcc_lo
	v_add_co_u32 v19, vcc_lo, v19, v25
	v_add_co_ci_u32_e32 v20, vcc_lo, v20, v25, vcc_lo
	s_delay_alu instid0(VALU_DEP_4) | instskip(NEXT) | instid1(VALU_DEP_4)
	v_add_co_u32 v18, vcc_lo, v21, v18
	v_add_co_ci_u32_e32 v21, vcc_lo, 0, v22, vcc_lo
	s_delay_alu instid0(VALU_DEP_4) | instskip(NEXT) | instid1(VALU_DEP_3)
	v_xor_b32_e32 v23, v19, v25
	v_add_co_u32 v3, vcc_lo, v3, v18
	s_delay_alu instid0(VALU_DEP_3) | instskip(SKIP_1) | instid1(VALU_DEP_3)
	v_add_co_ci_u32_e32 v24, vcc_lo, v17, v21, vcc_lo
	v_xor_b32_e32 v26, v20, v25
	v_mul_hi_u32 v27, v23, v3
	s_delay_alu instid0(VALU_DEP_3) | instskip(NEXT) | instid1(VALU_DEP_3)
	v_mad_u64_u32 v[17:18], null, v23, v24, 0
	v_mad_u64_u32 v[19:20], null, v26, v3, 0
	;; [unrolled: 1-line block ×3, first 2 shown]
	s_delay_alu instid0(VALU_DEP_3) | instskip(NEXT) | instid1(VALU_DEP_4)
	v_add_co_u32 v3, vcc_lo, v27, v17
	v_add_co_ci_u32_e32 v17, vcc_lo, 0, v18, vcc_lo
	s_delay_alu instid0(VALU_DEP_2) | instskip(NEXT) | instid1(VALU_DEP_2)
	v_add_co_u32 v3, vcc_lo, v3, v19
	v_add_co_ci_u32_e32 v3, vcc_lo, v17, v20, vcc_lo
	v_add_co_ci_u32_e32 v17, vcc_lo, 0, v22, vcc_lo
	s_delay_alu instid0(VALU_DEP_2) | instskip(NEXT) | instid1(VALU_DEP_2)
	v_add_co_u32 v3, vcc_lo, v3, v21
	v_add_co_ci_u32_e32 v19, vcc_lo, 0, v17, vcc_lo
	s_delay_alu instid0(VALU_DEP_2) | instskip(SKIP_1) | instid1(VALU_DEP_3)
	v_mul_lo_u32 v20, s29, v3
	v_mad_u64_u32 v[17:18], null, s28, v3, 0
	v_mul_lo_u32 v19, s28, v19
	s_delay_alu instid0(VALU_DEP_2) | instskip(NEXT) | instid1(VALU_DEP_2)
	v_sub_co_u32 v17, vcc_lo, v23, v17
	v_add3_u32 v18, v18, v19, v20
	v_add_co_u32 v20, s4, v3, 2
	s_delay_alu instid0(VALU_DEP_2) | instskip(NEXT) | instid1(VALU_DEP_1)
	v_sub_nc_u32_e32 v19, v26, v18
	v_subrev_co_ci_u32_e64 v19, s4, s29, v19, vcc_lo
	v_sub_co_u32 v21, s4, v17, s28
	v_sub_co_ci_u32_e32 v18, vcc_lo, v26, v18, vcc_lo
	s_delay_alu instid0(VALU_DEP_3) | instskip(NEXT) | instid1(VALU_DEP_3)
	v_subrev_co_ci_u32_e64 v19, s4, 0, v19, s4
	v_cmp_le_u32_e32 vcc_lo, s28, v21
	v_cndmask_b32_e64 v21, 0, -1, vcc_lo
	s_delay_alu instid0(VALU_DEP_3)
	v_cmp_le_u32_e32 vcc_lo, s29, v19
	v_cndmask_b32_e64 v22, 0, -1, vcc_lo
	v_cmp_le_u32_e32 vcc_lo, s28, v17
	v_cndmask_b32_e64 v17, 0, -1, vcc_lo
	;; [unrolled: 2-line block ×3, first 2 shown]
	v_cmp_eq_u32_e32 vcc_lo, s29, v19
	v_cndmask_b32_e32 v19, v22, v21, vcc_lo
	v_add_co_u32 v21, vcc_lo, v3, 1
	v_cmp_eq_u32_e32 vcc_lo, s29, v18
	v_cndmask_b32_e32 v17, v23, v17, vcc_lo
	s_delay_alu instid0(VALU_DEP_4) | instskip(NEXT) | instid1(VALU_DEP_4)
	v_cmp_ne_u32_e32 vcc_lo, 0, v19
	v_cndmask_b32_e32 v18, v21, v20, vcc_lo
	s_delay_alu instid0(VALU_DEP_3) | instskip(SKIP_1) | instid1(VALU_DEP_3)
	v_cmp_ne_u32_e32 vcc_lo, 0, v17
	v_xor_b32_e32 v17, s26, v25
                                        ; implicit-def: $vgpr19_vgpr20
	v_cndmask_b32_e32 v3, v3, v18, vcc_lo
	s_delay_alu instid0(VALU_DEP_1) | instskip(NEXT) | instid1(VALU_DEP_1)
	v_xor_b32_e32 v3, v3, v17
	v_sub_co_u32 v17, vcc_lo, v3, v17
.LBB10_57:                              ;   in Loop: Header=BB10_54 Depth=4
	s_or_saveexec_b32 s4, s31
	v_cvt_f32_u32_e32 v3, s41
	s_delay_alu instid0(VALU_DEP_1)
	v_rcp_iflag_f32_e32 v23, v3
	s_xor_b32 exec_lo, exec_lo, s4
	s_cbranch_execz .LBB10_59
; %bb.58:                               ;   in Loop: Header=BB10_54 Depth=4
	s_waitcnt_depctr 0xfff
	v_mul_f32_e32 v3, 0x4f7ffffe, v23
	s_sub_i32 s26, 0, s41
	s_delay_alu instid0(VALU_DEP_1) | instskip(NEXT) | instid1(VALU_DEP_1)
	v_cvt_u32_f32_e32 v3, v3
	v_mul_lo_u32 v17, s26, v3
	s_delay_alu instid0(VALU_DEP_1) | instskip(NEXT) | instid1(VALU_DEP_1)
	v_mul_hi_u32 v17, v3, v17
	v_add_nc_u32_e32 v3, v3, v17
	s_delay_alu instid0(VALU_DEP_1) | instskip(NEXT) | instid1(VALU_DEP_1)
	v_mul_hi_u32 v3, v19, v3
	v_mul_lo_u32 v17, v3, s41
	v_add_nc_u32_e32 v18, 1, v3
	s_delay_alu instid0(VALU_DEP_2) | instskip(NEXT) | instid1(VALU_DEP_1)
	v_sub_nc_u32_e32 v17, v19, v17
	v_subrev_nc_u32_e32 v19, s41, v17
	v_cmp_le_u32_e32 vcc_lo, s41, v17
	s_delay_alu instid0(VALU_DEP_2) | instskip(SKIP_1) | instid1(VALU_DEP_2)
	v_cndmask_b32_e32 v17, v17, v19, vcc_lo
	v_cndmask_b32_e32 v3, v3, v18, vcc_lo
	v_cmp_le_u32_e32 vcc_lo, s41, v17
	s_delay_alu instid0(VALU_DEP_2) | instskip(NEXT) | instid1(VALU_DEP_1)
	v_add_nc_u32_e32 v18, 1, v3
	v_cndmask_b32_e32 v17, v3, v18, vcc_lo
.LBB10_59:                              ;   in Loop: Header=BB10_54 Depth=4
	s_or_b32 exec_lo, exec_lo, s4
	v_or_b32_e32 v3, s45, v16
                                        ; implicit-def: $vgpr18_vgpr19
	s_mov_b32 s4, exec_lo
	s_delay_alu instid0(VALU_DEP_1)
	v_cmpx_ne_u64_e32 0, v[2:3]
	s_xor_b32 s31, exec_lo, s4
	s_cbranch_execz .LBB10_61
; %bb.60:                               ;   in Loop: Header=BB10_54 Depth=4
	s_add_u32 s28, s41, s45
	s_mov_b32 s26, s45
	s_mov_b32 s27, s45
	s_addc_u32 s29, s45, s45
	s_delay_alu instid0(SALU_CYCLE_1) | instskip(NEXT) | instid1(SALU_CYCLE_1)
	s_xor_b64 s[28:29], s[28:29], s[26:27]
	v_cvt_f32_u32_e32 v3, s28
	v_cvt_f32_u32_e32 v18, s29
	s_sub_u32 s4, 0, s28
	s_subb_u32 s34, 0, s29
	s_delay_alu instid0(VALU_DEP_1) | instskip(NEXT) | instid1(VALU_DEP_1)
	v_fmac_f32_e32 v3, 0x4f800000, v18
	v_rcp_f32_e32 v3, v3
	s_waitcnt_depctr 0xfff
	v_mul_f32_e32 v3, 0x5f7ffffc, v3
	s_delay_alu instid0(VALU_DEP_1) | instskip(NEXT) | instid1(VALU_DEP_1)
	v_mul_f32_e32 v18, 0x2f800000, v3
	v_trunc_f32_e32 v18, v18
	s_delay_alu instid0(VALU_DEP_1) | instskip(SKIP_1) | instid1(VALU_DEP_2)
	v_fmac_f32_e32 v3, 0xcf800000, v18
	v_cvt_u32_f32_e32 v18, v18
	v_cvt_u32_f32_e32 v3, v3
	s_delay_alu instid0(VALU_DEP_2) | instskip(NEXT) | instid1(VALU_DEP_2)
	v_mul_lo_u32 v19, s4, v18
	v_mul_hi_u32 v20, s4, v3
	v_mul_lo_u32 v21, s34, v3
	s_delay_alu instid0(VALU_DEP_2) | instskip(SKIP_1) | instid1(VALU_DEP_2)
	v_add_nc_u32_e32 v19, v20, v19
	v_mul_lo_u32 v20, s4, v3
	v_add_nc_u32_e32 v19, v19, v21
	s_delay_alu instid0(VALU_DEP_2) | instskip(NEXT) | instid1(VALU_DEP_2)
	v_mul_hi_u32 v21, v3, v20
	v_mul_lo_u32 v22, v3, v19
	v_mul_hi_u32 v24, v3, v19
	v_mul_hi_u32 v25, v18, v20
	v_mul_lo_u32 v20, v18, v20
	v_mul_hi_u32 v26, v18, v19
	v_mul_lo_u32 v19, v18, v19
	v_add_co_u32 v21, vcc_lo, v21, v22
	v_add_co_ci_u32_e32 v22, vcc_lo, 0, v24, vcc_lo
	s_delay_alu instid0(VALU_DEP_2) | instskip(NEXT) | instid1(VALU_DEP_2)
	v_add_co_u32 v20, vcc_lo, v21, v20
	v_add_co_ci_u32_e32 v20, vcc_lo, v22, v25, vcc_lo
	v_add_co_ci_u32_e32 v21, vcc_lo, 0, v26, vcc_lo
	v_ashrrev_i32_e32 v26, 31, v16
	s_delay_alu instid0(VALU_DEP_3) | instskip(NEXT) | instid1(VALU_DEP_3)
	v_add_co_u32 v19, vcc_lo, v20, v19
	v_add_co_ci_u32_e32 v20, vcc_lo, 0, v21, vcc_lo
	s_delay_alu instid0(VALU_DEP_2) | instskip(NEXT) | instid1(VALU_DEP_2)
	v_add_co_u32 v3, vcc_lo, v3, v19
	v_add_co_ci_u32_e32 v18, vcc_lo, v18, v20, vcc_lo
	s_delay_alu instid0(VALU_DEP_2) | instskip(SKIP_1) | instid1(VALU_DEP_3)
	v_mul_hi_u32 v19, s4, v3
	v_mul_lo_u32 v21, s34, v3
	v_mul_lo_u32 v20, s4, v18
	s_delay_alu instid0(VALU_DEP_1) | instskip(SKIP_1) | instid1(VALU_DEP_2)
	v_add_nc_u32_e32 v19, v19, v20
	v_mul_lo_u32 v20, s4, v3
	v_add_nc_u32_e32 v19, v19, v21
	s_delay_alu instid0(VALU_DEP_2) | instskip(NEXT) | instid1(VALU_DEP_2)
	v_mul_hi_u32 v21, v3, v20
	v_mul_lo_u32 v22, v3, v19
	v_mul_hi_u32 v24, v3, v19
	v_mul_hi_u32 v25, v18, v20
	v_mul_lo_u32 v20, v18, v20
	v_mul_hi_u32 v27, v18, v19
	v_mul_lo_u32 v19, v18, v19
	v_add_co_u32 v21, vcc_lo, v21, v22
	v_add_co_ci_u32_e32 v22, vcc_lo, 0, v24, vcc_lo
	s_delay_alu instid0(VALU_DEP_2) | instskip(NEXT) | instid1(VALU_DEP_2)
	v_add_co_u32 v20, vcc_lo, v21, v20
	v_add_co_ci_u32_e32 v20, vcc_lo, v22, v25, vcc_lo
	v_add_co_ci_u32_e32 v21, vcc_lo, 0, v27, vcc_lo
	v_add_co_u32 v22, vcc_lo, v7, v26
	v_add_co_ci_u32_e32 v24, vcc_lo, v16, v26, vcc_lo
	s_delay_alu instid0(VALU_DEP_4) | instskip(NEXT) | instid1(VALU_DEP_4)
	v_add_co_u32 v19, vcc_lo, v20, v19
	v_add_co_ci_u32_e32 v20, vcc_lo, 0, v21, vcc_lo
	s_delay_alu instid0(VALU_DEP_4) | instskip(NEXT) | instid1(VALU_DEP_3)
	v_xor_b32_e32 v22, v22, v26
	v_add_co_u32 v3, vcc_lo, v3, v19
	s_delay_alu instid0(VALU_DEP_3) | instskip(SKIP_1) | instid1(VALU_DEP_3)
	v_add_co_ci_u32_e32 v27, vcc_lo, v18, v20, vcc_lo
	v_xor_b32_e32 v28, v24, v26
	v_mul_hi_u32 v37, v22, v3
	s_delay_alu instid0(VALU_DEP_3) | instskip(NEXT) | instid1(VALU_DEP_3)
	v_mad_u64_u32 v[18:19], null, v22, v27, 0
	v_mad_u64_u32 v[20:21], null, v28, v3, 0
	;; [unrolled: 1-line block ×3, first 2 shown]
	s_delay_alu instid0(VALU_DEP_3) | instskip(NEXT) | instid1(VALU_DEP_4)
	v_add_co_u32 v3, vcc_lo, v37, v18
	v_add_co_ci_u32_e32 v18, vcc_lo, 0, v19, vcc_lo
	s_delay_alu instid0(VALU_DEP_2) | instskip(NEXT) | instid1(VALU_DEP_2)
	v_add_co_u32 v3, vcc_lo, v3, v20
	v_add_co_ci_u32_e32 v3, vcc_lo, v18, v21, vcc_lo
	v_add_co_ci_u32_e32 v18, vcc_lo, 0, v25, vcc_lo
	s_delay_alu instid0(VALU_DEP_2) | instskip(NEXT) | instid1(VALU_DEP_2)
	v_add_co_u32 v3, vcc_lo, v3, v24
	v_add_co_ci_u32_e32 v20, vcc_lo, 0, v18, vcc_lo
	s_delay_alu instid0(VALU_DEP_2) | instskip(SKIP_1) | instid1(VALU_DEP_3)
	v_mul_lo_u32 v21, s29, v3
	v_mad_u64_u32 v[18:19], null, s28, v3, 0
	v_mul_lo_u32 v24, s28, v20
	s_delay_alu instid0(VALU_DEP_2) | instskip(NEXT) | instid1(VALU_DEP_2)
	v_sub_co_u32 v18, vcc_lo, v22, v18
	v_add3_u32 v19, v19, v24, v21
	s_delay_alu instid0(VALU_DEP_1) | instskip(NEXT) | instid1(VALU_DEP_1)
	v_sub_nc_u32_e32 v21, v28, v19
	v_subrev_co_ci_u32_e64 v21, s4, s29, v21, vcc_lo
	v_add_co_u32 v22, s4, v3, 2
	s_delay_alu instid0(VALU_DEP_1) | instskip(SKIP_3) | instid1(VALU_DEP_3)
	v_add_co_ci_u32_e64 v24, s4, 0, v20, s4
	v_sub_co_u32 v25, s4, v18, s28
	v_sub_co_ci_u32_e32 v19, vcc_lo, v28, v19, vcc_lo
	v_subrev_co_ci_u32_e64 v21, s4, 0, v21, s4
	v_cmp_le_u32_e32 vcc_lo, s28, v25
	s_delay_alu instid0(VALU_DEP_3) | instskip(SKIP_1) | instid1(VALU_DEP_4)
	v_cmp_eq_u32_e64 s4, s29, v19
	v_cndmask_b32_e64 v25, 0, -1, vcc_lo
	v_cmp_le_u32_e32 vcc_lo, s29, v21
	v_cndmask_b32_e64 v27, 0, -1, vcc_lo
	v_cmp_le_u32_e32 vcc_lo, s28, v18
	;; [unrolled: 2-line block ×3, first 2 shown]
	v_cndmask_b32_e64 v28, 0, -1, vcc_lo
	v_cmp_eq_u32_e32 vcc_lo, s29, v21
	s_delay_alu instid0(VALU_DEP_2) | instskip(SKIP_3) | instid1(VALU_DEP_3)
	v_cndmask_b32_e64 v18, v28, v18, s4
	v_cndmask_b32_e32 v21, v27, v25, vcc_lo
	v_add_co_u32 v25, vcc_lo, v3, 1
	v_add_co_ci_u32_e32 v27, vcc_lo, 0, v20, vcc_lo
	v_cmp_ne_u32_e32 vcc_lo, 0, v21
	s_delay_alu instid0(VALU_DEP_2) | instskip(NEXT) | instid1(VALU_DEP_4)
	v_cndmask_b32_e32 v19, v27, v24, vcc_lo
	v_cndmask_b32_e32 v21, v25, v22, vcc_lo
	v_cmp_ne_u32_e32 vcc_lo, 0, v18
	v_xor_b32_e32 v18, s26, v26
	s_delay_alu instid0(VALU_DEP_3) | instskip(SKIP_2) | instid1(VALU_DEP_3)
	v_cndmask_b32_e32 v3, v3, v21, vcc_lo
	v_cndmask_b32_e32 v19, v20, v19, vcc_lo
	v_xor_b32_e32 v20, s27, v26
	v_xor_b32_e32 v3, v3, v18
	s_delay_alu instid0(VALU_DEP_2) | instskip(NEXT) | instid1(VALU_DEP_2)
	v_xor_b32_e32 v19, v19, v20
	v_sub_co_u32 v18, vcc_lo, v3, v18
	s_delay_alu instid0(VALU_DEP_2)
	v_sub_co_ci_u32_e32 v19, vcc_lo, v19, v20, vcc_lo
.LBB10_61:                              ;   in Loop: Header=BB10_54 Depth=4
	s_and_not1_saveexec_b32 s4, s31
	s_cbranch_execz .LBB10_63
; %bb.62:                               ;   in Loop: Header=BB10_54 Depth=4
	s_waitcnt_depctr 0xfff
	v_mul_f32_e32 v3, 0x4f7ffffe, v23
	s_sub_i32 s26, 0, s41
	s_delay_alu instid0(VALU_DEP_1) | instskip(NEXT) | instid1(VALU_DEP_1)
	v_cvt_u32_f32_e32 v3, v3
	v_mul_lo_u32 v18, s26, v3
	s_delay_alu instid0(VALU_DEP_1) | instskip(NEXT) | instid1(VALU_DEP_1)
	v_mul_hi_u32 v18, v3, v18
	v_add_nc_u32_e32 v3, v3, v18
	s_delay_alu instid0(VALU_DEP_1) | instskip(NEXT) | instid1(VALU_DEP_1)
	v_mul_hi_u32 v3, v7, v3
	v_mul_lo_u32 v18, v3, s41
	v_add_nc_u32_e32 v19, 1, v3
	s_delay_alu instid0(VALU_DEP_2) | instskip(NEXT) | instid1(VALU_DEP_1)
	v_sub_nc_u32_e32 v18, v7, v18
	v_subrev_nc_u32_e32 v20, s41, v18
	v_cmp_le_u32_e32 vcc_lo, s41, v18
	s_delay_alu instid0(VALU_DEP_2) | instskip(NEXT) | instid1(VALU_DEP_1)
	v_dual_cndmask_b32 v18, v18, v20 :: v_dual_cndmask_b32 v3, v3, v19
	v_cmp_le_u32_e32 vcc_lo, s41, v18
	s_delay_alu instid0(VALU_DEP_2) | instskip(NEXT) | instid1(VALU_DEP_1)
	v_add_nc_u32_e32 v19, 1, v3
	v_dual_cndmask_b32 v18, v3, v19 :: v_dual_mov_b32 v19, v2
.LBB10_63:                              ;   in Loop: Header=BB10_54 Depth=4
	s_or_b32 exec_lo, exec_lo, s4
	s_delay_alu instid0(VALU_DEP_1) | instskip(NEXT) | instid1(VALU_DEP_2)
	v_mul_lo_u32 v3, v19, s41
	v_mul_lo_u32 v21, v18, s45
	v_mad_u64_u32 v[19:20], null, v18, s41, 0
	s_mov_b32 s4, exec_lo
	s_delay_alu instid0(VALU_DEP_1) | instskip(NEXT) | instid1(VALU_DEP_2)
	v_add3_u32 v3, v20, v21, v3
	v_sub_co_u32 v21, vcc_lo, v7, v19
	s_delay_alu instid0(VALU_DEP_2) | instskip(NEXT) | instid1(VALU_DEP_2)
	v_sub_co_ci_u32_e32 v3, vcc_lo, v16, v3, vcc_lo
	v_mul_lo_u32 v16, v21, s17
	v_mad_u64_u32 v[19:20], null, v21, s37, 0
	s_delay_alu instid0(VALU_DEP_3) | instskip(NEXT) | instid1(VALU_DEP_1)
	v_mul_lo_u32 v3, v3, s37
                                        ; implicit-def: $vgpr21_vgpr22
	v_add3_u32 v20, v20, v16, v3
	s_delay_alu instid0(VALU_DEP_1) | instskip(NEXT) | instid1(VALU_DEP_1)
	v_or_b32_e32 v3, s45, v20
	v_cmpx_ne_u64_e32 0, v[2:3]
	s_xor_b32 s31, exec_lo, s4
	s_cbranch_execz .LBB10_65
; %bb.64:                               ;   in Loop: Header=BB10_54 Depth=4
	s_add_u32 s28, s41, s45
	s_mov_b32 s26, s45
	s_mov_b32 s27, s45
	s_addc_u32 s29, s45, s45
	s_delay_alu instid0(SALU_CYCLE_1) | instskip(NEXT) | instid1(SALU_CYCLE_1)
	s_xor_b64 s[28:29], s[28:29], s[26:27]
	v_cvt_f32_u32_e32 v3, s28
	v_cvt_f32_u32_e32 v16, s29
	s_sub_u32 s4, 0, s28
	s_subb_u32 s27, 0, s29
	s_delay_alu instid0(VALU_DEP_1) | instskip(NEXT) | instid1(VALU_DEP_1)
	v_fmac_f32_e32 v3, 0x4f800000, v16
	v_rcp_f32_e32 v3, v3
	s_waitcnt_depctr 0xfff
	v_mul_f32_e32 v3, 0x5f7ffffc, v3
	s_delay_alu instid0(VALU_DEP_1) | instskip(NEXT) | instid1(VALU_DEP_1)
	v_mul_f32_e32 v16, 0x2f800000, v3
	v_trunc_f32_e32 v16, v16
	s_delay_alu instid0(VALU_DEP_1) | instskip(SKIP_1) | instid1(VALU_DEP_2)
	v_fmac_f32_e32 v3, 0xcf800000, v16
	v_cvt_u32_f32_e32 v16, v16
	v_cvt_u32_f32_e32 v3, v3
	s_delay_alu instid0(VALU_DEP_2) | instskip(NEXT) | instid1(VALU_DEP_2)
	v_mul_lo_u32 v21, s4, v16
	v_mul_hi_u32 v22, s4, v3
	v_mul_lo_u32 v23, s27, v3
	s_delay_alu instid0(VALU_DEP_2) | instskip(SKIP_1) | instid1(VALU_DEP_2)
	v_add_nc_u32_e32 v21, v22, v21
	v_mul_lo_u32 v22, s4, v3
	v_add_nc_u32_e32 v21, v21, v23
	s_delay_alu instid0(VALU_DEP_2) | instskip(NEXT) | instid1(VALU_DEP_2)
	v_mul_hi_u32 v23, v3, v22
	v_mul_lo_u32 v24, v3, v21
	v_mul_hi_u32 v25, v3, v21
	v_mul_hi_u32 v26, v16, v22
	v_mul_lo_u32 v22, v16, v22
	v_mul_hi_u32 v27, v16, v21
	v_mul_lo_u32 v21, v16, v21
	v_add_co_u32 v23, vcc_lo, v23, v24
	v_add_co_ci_u32_e32 v24, vcc_lo, 0, v25, vcc_lo
	s_delay_alu instid0(VALU_DEP_2) | instskip(NEXT) | instid1(VALU_DEP_2)
	v_add_co_u32 v22, vcc_lo, v23, v22
	v_add_co_ci_u32_e32 v22, vcc_lo, v24, v26, vcc_lo
	v_add_co_ci_u32_e32 v23, vcc_lo, 0, v27, vcc_lo
	v_ashrrev_i32_e32 v26, 31, v20
	s_delay_alu instid0(VALU_DEP_3) | instskip(NEXT) | instid1(VALU_DEP_3)
	v_add_co_u32 v21, vcc_lo, v22, v21
	v_add_co_ci_u32_e32 v22, vcc_lo, 0, v23, vcc_lo
	s_delay_alu instid0(VALU_DEP_2) | instskip(NEXT) | instid1(VALU_DEP_2)
	v_add_co_u32 v3, vcc_lo, v3, v21
	v_add_co_ci_u32_e32 v16, vcc_lo, v16, v22, vcc_lo
	s_delay_alu instid0(VALU_DEP_2) | instskip(SKIP_1) | instid1(VALU_DEP_3)
	v_mul_hi_u32 v21, s4, v3
	v_mul_lo_u32 v23, s27, v3
	v_mul_lo_u32 v22, s4, v16
	s_delay_alu instid0(VALU_DEP_1) | instskip(SKIP_1) | instid1(VALU_DEP_2)
	v_add_nc_u32_e32 v21, v21, v22
	v_mul_lo_u32 v22, s4, v3
	v_add_nc_u32_e32 v21, v21, v23
	s_delay_alu instid0(VALU_DEP_2) | instskip(NEXT) | instid1(VALU_DEP_2)
	v_mul_hi_u32 v23, v3, v22
	v_mul_lo_u32 v24, v3, v21
	v_mul_hi_u32 v25, v3, v21
	v_mul_hi_u32 v27, v16, v22
	v_mul_lo_u32 v22, v16, v22
	v_mul_hi_u32 v28, v16, v21
	v_mul_lo_u32 v21, v16, v21
	v_add_co_u32 v23, vcc_lo, v23, v24
	v_add_co_ci_u32_e32 v24, vcc_lo, 0, v25, vcc_lo
	s_delay_alu instid0(VALU_DEP_2) | instskip(NEXT) | instid1(VALU_DEP_2)
	v_add_co_u32 v22, vcc_lo, v23, v22
	v_add_co_ci_u32_e32 v22, vcc_lo, v24, v27, vcc_lo
	v_add_co_ci_u32_e32 v23, vcc_lo, 0, v28, vcc_lo
	v_add_co_u32 v19, vcc_lo, v19, v26
	v_add_co_ci_u32_e32 v20, vcc_lo, v20, v26, vcc_lo
	s_delay_alu instid0(VALU_DEP_4) | instskip(NEXT) | instid1(VALU_DEP_4)
	v_add_co_u32 v21, vcc_lo, v22, v21
	v_add_co_ci_u32_e32 v22, vcc_lo, 0, v23, vcc_lo
	s_delay_alu instid0(VALU_DEP_4) | instskip(NEXT) | instid1(VALU_DEP_3)
	v_xor_b32_e32 v25, v19, v26
	v_add_co_u32 v3, vcc_lo, v3, v21
	s_delay_alu instid0(VALU_DEP_3) | instskip(SKIP_1) | instid1(VALU_DEP_3)
	v_add_co_ci_u32_e32 v16, vcc_lo, v16, v22, vcc_lo
	v_xor_b32_e32 v27, v20, v26
	v_mul_hi_u32 v28, v25, v3
	s_delay_alu instid0(VALU_DEP_3) | instskip(NEXT) | instid1(VALU_DEP_3)
	v_mad_u64_u32 v[19:20], null, v25, v16, 0
	v_mad_u64_u32 v[21:22], null, v27, v3, 0
	;; [unrolled: 1-line block ×3, first 2 shown]
	s_delay_alu instid0(VALU_DEP_3) | instskip(NEXT) | instid1(VALU_DEP_4)
	v_add_co_u32 v3, vcc_lo, v28, v19
	v_add_co_ci_u32_e32 v16, vcc_lo, 0, v20, vcc_lo
	s_delay_alu instid0(VALU_DEP_2) | instskip(NEXT) | instid1(VALU_DEP_2)
	v_add_co_u32 v3, vcc_lo, v3, v21
	v_add_co_ci_u32_e32 v3, vcc_lo, v16, v22, vcc_lo
	v_add_co_ci_u32_e32 v16, vcc_lo, 0, v24, vcc_lo
	s_delay_alu instid0(VALU_DEP_2) | instskip(NEXT) | instid1(VALU_DEP_2)
	v_add_co_u32 v3, vcc_lo, v3, v23
	v_add_co_ci_u32_e32 v16, vcc_lo, 0, v16, vcc_lo
	s_delay_alu instid0(VALU_DEP_2) | instskip(SKIP_1) | instid1(VALU_DEP_3)
	v_mul_lo_u32 v21, s29, v3
	v_mad_u64_u32 v[19:20], null, s28, v3, 0
	v_mul_lo_u32 v16, s28, v16
	s_delay_alu instid0(VALU_DEP_2) | instskip(NEXT) | instid1(VALU_DEP_2)
	v_sub_co_u32 v19, vcc_lo, v25, v19
	v_add3_u32 v16, v20, v16, v21
	v_add_co_u32 v21, s4, v3, 2
	s_delay_alu instid0(VALU_DEP_2) | instskip(NEXT) | instid1(VALU_DEP_1)
	v_sub_nc_u32_e32 v20, v27, v16
	v_subrev_co_ci_u32_e64 v20, s4, s29, v20, vcc_lo
	v_sub_co_u32 v22, s4, v19, s28
	v_sub_co_ci_u32_e32 v16, vcc_lo, v27, v16, vcc_lo
	s_delay_alu instid0(VALU_DEP_3) | instskip(NEXT) | instid1(VALU_DEP_3)
	v_subrev_co_ci_u32_e64 v20, s4, 0, v20, s4
	v_cmp_le_u32_e32 vcc_lo, s28, v22
	v_cndmask_b32_e64 v22, 0, -1, vcc_lo
	s_delay_alu instid0(VALU_DEP_3)
	v_cmp_le_u32_e32 vcc_lo, s29, v20
	v_cndmask_b32_e64 v23, 0, -1, vcc_lo
	v_cmp_le_u32_e32 vcc_lo, s28, v19
	v_cndmask_b32_e64 v19, 0, -1, vcc_lo
	v_cmp_le_u32_e32 vcc_lo, s29, v16
	v_cndmask_b32_e64 v24, 0, -1, vcc_lo
	v_cmp_eq_u32_e32 vcc_lo, s29, v20
	v_cndmask_b32_e32 v20, v23, v22, vcc_lo
	v_add_co_u32 v22, vcc_lo, v3, 1
	v_cmp_eq_u32_e32 vcc_lo, s29, v16
                                        ; implicit-def: $vgpr23
	v_cndmask_b32_e32 v16, v24, v19, vcc_lo
	s_delay_alu instid0(VALU_DEP_4) | instskip(NEXT) | instid1(VALU_DEP_4)
	v_cmp_ne_u32_e32 vcc_lo, 0, v20
	v_cndmask_b32_e32 v19, v22, v21, vcc_lo
	s_delay_alu instid0(VALU_DEP_3) | instskip(SKIP_1) | instid1(VALU_DEP_3)
	v_cmp_ne_u32_e32 vcc_lo, 0, v16
	v_xor_b32_e32 v16, s26, v26
	v_cndmask_b32_e32 v3, v3, v19, vcc_lo
                                        ; implicit-def: $vgpr19_vgpr20
	s_delay_alu instid0(VALU_DEP_1) | instskip(NEXT) | instid1(VALU_DEP_1)
	v_xor_b32_e32 v3, v3, v16
	v_sub_co_u32 v21, vcc_lo, v3, v16
.LBB10_65:                              ;   in Loop: Header=BB10_54 Depth=4
	s_and_not1_saveexec_b32 s4, s31
	s_cbranch_execz .LBB10_67
; %bb.66:                               ;   in Loop: Header=BB10_54 Depth=4
	v_mul_f32_e32 v3, 0x4f7ffffe, v23
	s_sub_i32 s26, 0, s41
	s_delay_alu instid0(VALU_DEP_1) | instskip(NEXT) | instid1(VALU_DEP_1)
	v_cvt_u32_f32_e32 v3, v3
	v_mul_lo_u32 v16, s26, v3
	s_delay_alu instid0(VALU_DEP_1) | instskip(NEXT) | instid1(VALU_DEP_1)
	v_mul_hi_u32 v16, v3, v16
	v_add_nc_u32_e32 v3, v3, v16
	s_delay_alu instid0(VALU_DEP_1) | instskip(NEXT) | instid1(VALU_DEP_1)
	v_mul_hi_u32 v3, v19, v3
	v_mul_lo_u32 v16, v3, s41
	s_delay_alu instid0(VALU_DEP_1) | instskip(SKIP_1) | instid1(VALU_DEP_2)
	v_sub_nc_u32_e32 v16, v19, v16
	v_add_nc_u32_e32 v19, 1, v3
	v_subrev_nc_u32_e32 v20, s41, v16
	v_cmp_le_u32_e32 vcc_lo, s41, v16
	s_delay_alu instid0(VALU_DEP_2) | instskip(NEXT) | instid1(VALU_DEP_1)
	v_dual_cndmask_b32 v16, v16, v20 :: v_dual_cndmask_b32 v3, v3, v19
	v_cmp_le_u32_e32 vcc_lo, s41, v16
	s_delay_alu instid0(VALU_DEP_2) | instskip(NEXT) | instid1(VALU_DEP_1)
	v_add_nc_u32_e32 v19, 1, v3
	v_cndmask_b32_e32 v21, v3, v19, vcc_lo
.LBB10_67:                              ;   in Loop: Header=BB10_54 Depth=4
	s_or_b32 exec_lo, exec_lo, s4
	global_load_u16 v37, v[13:14], off
	v_mad_u64_u32 v[19:20], null, v18, s37, v[21:22]
	v_ashrrev_i32_e32 v16, 31, v15
	v_dual_mov_b32 v22, v9 :: v_dual_mov_b32 v21, v8
	s_mov_b32 s31, 0
	s_delay_alu instid0(VALU_DEP_3) | instskip(NEXT) | instid1(VALU_DEP_3)
	v_sub_nc_u32_e32 v3, v17, v19
	v_lshlrev_b64 v[18:19], 1, v[15:16]
	s_delay_alu instid0(VALU_DEP_2) | instskip(NEXT) | instid1(VALU_DEP_2)
	v_mad_u64_u32 v[16:17], null, v0, v3, v[0:1]
	v_add_co_u32 v17, vcc_lo, s22, v18
	s_delay_alu instid0(VALU_DEP_3)
	v_add_co_ci_u32_e32 v18, vcc_lo, s23, v19, vcc_lo
	v_dual_mov_b32 v20, v11 :: v_dual_mov_b32 v19, v10
	s_branch .LBB10_69
.LBB10_68:                              ;   in Loop: Header=BB10_69 Depth=5
	s_or_b32 exec_lo, exec_lo, s4
	global_load_u16 v3, v[17:18], off
	v_mad_u64_u32 v[25:26], null, v24, s40, v[27:28]
	v_add_co_u32 v19, s4, v19, s40
	s_delay_alu instid0(VALU_DEP_1) | instskip(NEXT) | instid1(VALU_DEP_3)
	v_add_co_ci_u32_e64 v20, s4, s33, v20, s4
	v_sub_nc_u32_e32 v25, v23, v25
	s_delay_alu instid0(VALU_DEP_1) | instskip(NEXT) | instid1(VALU_DEP_1)
	v_mad_u64_u32 v[23:24], null, v16, v25, v[16:17]
	v_cvt_f32_i32_e32 v23, v23
	s_waitcnt vmcnt(0)
	v_cvt_f32_f16_e32 v3, v3
	s_delay_alu instid0(VALU_DEP_1) | instskip(SKIP_1) | instid1(VALU_DEP_2)
	v_div_scale_f32 v24, null, v23, v23, v3
	v_div_scale_f32 v27, vcc_lo, v3, v23, v3
	v_rcp_f32_e32 v25, v24
	s_waitcnt_depctr 0xfff
	v_fma_f32 v26, -v24, v25, 1.0
	s_delay_alu instid0(VALU_DEP_1) | instskip(NEXT) | instid1(VALU_DEP_1)
	v_fmac_f32_e32 v25, v26, v25
	v_mul_f32_e32 v26, v27, v25
	s_delay_alu instid0(VALU_DEP_1) | instskip(NEXT) | instid1(VALU_DEP_1)
	v_fma_f32 v28, -v24, v26, v27
	v_fmac_f32_e32 v26, v28, v25
	s_delay_alu instid0(VALU_DEP_1) | instskip(NEXT) | instid1(VALU_DEP_1)
	v_fma_f32 v24, -v24, v26, v27
	v_div_fmas_f32 v24, v24, v25, v26
	v_add_co_u32 v21, vcc_lo, v21, 1
	v_add_co_ci_u32_e32 v22, vcc_lo, 0, v22, vcc_lo
	s_delay_alu instid0(VALU_DEP_3) | instskip(SKIP_2) | instid1(VALU_DEP_3)
	v_div_fixup_f32 v3, v24, v23, v3
	v_add_co_u32 v17, vcc_lo, v17, 2
	v_add_co_ci_u32_e32 v18, vcc_lo, 0, v18, vcc_lo
	v_cvt_f16_f32_e32 v3, v3
	v_cmp_ge_i32_e32 vcc_lo, v21, v36
	s_delay_alu instid0(VALU_DEP_2)
	v_add_f16_e32 v37, v37, v3
	s_or_b32 s31, vcc_lo, s31
	global_store_b16 v[13:14], v37, off
	s_and_not1_b32 exec_lo, exec_lo, s31
	s_cbranch_execz .LBB10_53
.LBB10_69:                              ;   Parent Loop BB10_12 Depth=1
                                        ;     Parent Loop BB10_27 Depth=2
                                        ;       Parent Loop BB10_42 Depth=3
                                        ;         Parent Loop BB10_54 Depth=4
                                        ; =>        This Inner Loop Header: Depth=5
	s_delay_alu instid0(VALU_DEP_1) | instskip(SKIP_1) | instid1(VALU_DEP_1)
	v_or_b32_e32 v3, s46, v20
                                        ; implicit-def: $vgpr23_vgpr24
	s_mov_b32 s4, exec_lo
	v_cmpx_ne_u64_e32 0, v[2:3]
	s_xor_b32 s34, exec_lo, s4
	s_cbranch_execz .LBB10_71
; %bb.70:                               ;   in Loop: Header=BB10_69 Depth=5
	s_add_u32 s28, s42, s46
	s_mov_b32 s26, s46
	s_mov_b32 s27, s46
	s_addc_u32 s29, s46, s46
	s_delay_alu instid0(SALU_CYCLE_1) | instskip(NEXT) | instid1(SALU_CYCLE_1)
	s_xor_b64 s[28:29], s[28:29], s[26:27]
	v_cvt_f32_u32_e32 v3, s28
	v_cvt_f32_u32_e32 v23, s29
	s_sub_u32 s4, 0, s28
	s_subb_u32 s27, 0, s29
	s_delay_alu instid0(VALU_DEP_1) | instskip(NEXT) | instid1(VALU_DEP_1)
	v_fmac_f32_e32 v3, 0x4f800000, v23
	v_rcp_f32_e32 v3, v3
	s_waitcnt_depctr 0xfff
	v_mul_f32_e32 v3, 0x5f7ffffc, v3
	s_delay_alu instid0(VALU_DEP_1) | instskip(NEXT) | instid1(VALU_DEP_1)
	v_mul_f32_e32 v23, 0x2f800000, v3
	v_trunc_f32_e32 v23, v23
	s_delay_alu instid0(VALU_DEP_1) | instskip(SKIP_1) | instid1(VALU_DEP_2)
	v_fmac_f32_e32 v3, 0xcf800000, v23
	v_cvt_u32_f32_e32 v23, v23
	v_cvt_u32_f32_e32 v3, v3
	s_delay_alu instid0(VALU_DEP_2) | instskip(NEXT) | instid1(VALU_DEP_2)
	v_mul_lo_u32 v24, s4, v23
	v_mul_hi_u32 v25, s4, v3
	v_mul_lo_u32 v26, s27, v3
	s_delay_alu instid0(VALU_DEP_2) | instskip(SKIP_1) | instid1(VALU_DEP_2)
	v_add_nc_u32_e32 v24, v25, v24
	v_mul_lo_u32 v25, s4, v3
	v_add_nc_u32_e32 v24, v24, v26
	s_delay_alu instid0(VALU_DEP_2) | instskip(NEXT) | instid1(VALU_DEP_2)
	v_mul_hi_u32 v26, v3, v25
	v_mul_lo_u32 v27, v3, v24
	v_mul_hi_u32 v28, v3, v24
	v_mul_hi_u32 v38, v23, v25
	v_mul_lo_u32 v25, v23, v25
	v_mul_hi_u32 v39, v23, v24
	v_mul_lo_u32 v24, v23, v24
	v_add_co_u32 v26, vcc_lo, v26, v27
	v_add_co_ci_u32_e32 v27, vcc_lo, 0, v28, vcc_lo
	s_delay_alu instid0(VALU_DEP_2) | instskip(NEXT) | instid1(VALU_DEP_2)
	v_add_co_u32 v25, vcc_lo, v26, v25
	v_add_co_ci_u32_e32 v25, vcc_lo, v27, v38, vcc_lo
	v_add_co_ci_u32_e32 v26, vcc_lo, 0, v39, vcc_lo
	v_ashrrev_i32_e32 v38, 31, v20
	s_delay_alu instid0(VALU_DEP_3) | instskip(NEXT) | instid1(VALU_DEP_3)
	v_add_co_u32 v24, vcc_lo, v25, v24
	v_add_co_ci_u32_e32 v25, vcc_lo, 0, v26, vcc_lo
	s_delay_alu instid0(VALU_DEP_2) | instskip(NEXT) | instid1(VALU_DEP_2)
	v_add_co_u32 v3, vcc_lo, v3, v24
	v_add_co_ci_u32_e32 v23, vcc_lo, v23, v25, vcc_lo
	s_delay_alu instid0(VALU_DEP_2) | instskip(SKIP_1) | instid1(VALU_DEP_3)
	v_mul_hi_u32 v24, s4, v3
	v_mul_lo_u32 v26, s27, v3
	v_mul_lo_u32 v25, s4, v23
	s_delay_alu instid0(VALU_DEP_1) | instskip(SKIP_1) | instid1(VALU_DEP_2)
	v_add_nc_u32_e32 v24, v24, v25
	v_mul_lo_u32 v25, s4, v3
	v_add_nc_u32_e32 v24, v24, v26
	s_delay_alu instid0(VALU_DEP_2) | instskip(NEXT) | instid1(VALU_DEP_2)
	v_mul_hi_u32 v26, v3, v25
	v_mul_lo_u32 v27, v3, v24
	v_mul_hi_u32 v28, v3, v24
	v_mul_hi_u32 v39, v23, v25
	v_mul_lo_u32 v25, v23, v25
	v_mul_hi_u32 v40, v23, v24
	v_mul_lo_u32 v24, v23, v24
	v_add_co_u32 v26, vcc_lo, v26, v27
	v_add_co_ci_u32_e32 v27, vcc_lo, 0, v28, vcc_lo
	s_delay_alu instid0(VALU_DEP_2) | instskip(NEXT) | instid1(VALU_DEP_2)
	v_add_co_u32 v25, vcc_lo, v26, v25
	v_add_co_ci_u32_e32 v25, vcc_lo, v27, v39, vcc_lo
	v_add_co_ci_u32_e32 v26, vcc_lo, 0, v40, vcc_lo
	v_add_co_u32 v27, vcc_lo, v19, v38
	v_add_co_ci_u32_e32 v28, vcc_lo, v20, v38, vcc_lo
	s_delay_alu instid0(VALU_DEP_4) | instskip(NEXT) | instid1(VALU_DEP_4)
	v_add_co_u32 v24, vcc_lo, v25, v24
	v_add_co_ci_u32_e32 v25, vcc_lo, 0, v26, vcc_lo
	s_delay_alu instid0(VALU_DEP_4) | instskip(NEXT) | instid1(VALU_DEP_3)
	v_xor_b32_e32 v39, v27, v38
	v_add_co_u32 v3, vcc_lo, v3, v24
	s_delay_alu instid0(VALU_DEP_3) | instskip(SKIP_1) | instid1(VALU_DEP_3)
	v_add_co_ci_u32_e32 v40, vcc_lo, v23, v25, vcc_lo
	v_xor_b32_e32 v41, v28, v38
	v_mul_hi_u32 v42, v39, v3
	s_delay_alu instid0(VALU_DEP_3) | instskip(NEXT) | instid1(VALU_DEP_3)
	v_mad_u64_u32 v[23:24], null, v39, v40, 0
	v_mad_u64_u32 v[25:26], null, v41, v3, 0
	;; [unrolled: 1-line block ×3, first 2 shown]
	s_delay_alu instid0(VALU_DEP_3) | instskip(NEXT) | instid1(VALU_DEP_4)
	v_add_co_u32 v3, vcc_lo, v42, v23
	v_add_co_ci_u32_e32 v23, vcc_lo, 0, v24, vcc_lo
	s_delay_alu instid0(VALU_DEP_2) | instskip(NEXT) | instid1(VALU_DEP_2)
	v_add_co_u32 v3, vcc_lo, v3, v25
	v_add_co_ci_u32_e32 v3, vcc_lo, v23, v26, vcc_lo
	v_add_co_ci_u32_e32 v23, vcc_lo, 0, v28, vcc_lo
	s_delay_alu instid0(VALU_DEP_2) | instskip(NEXT) | instid1(VALU_DEP_2)
	v_add_co_u32 v3, vcc_lo, v3, v27
	v_add_co_ci_u32_e32 v25, vcc_lo, 0, v23, vcc_lo
	s_delay_alu instid0(VALU_DEP_2) | instskip(SKIP_1) | instid1(VALU_DEP_3)
	v_mul_lo_u32 v26, s29, v3
	v_mad_u64_u32 v[23:24], null, s28, v3, 0
	v_mul_lo_u32 v25, s28, v25
	s_delay_alu instid0(VALU_DEP_2) | instskip(NEXT) | instid1(VALU_DEP_2)
	v_sub_co_u32 v23, vcc_lo, v39, v23
	v_add3_u32 v24, v24, v25, v26
	v_add_co_u32 v26, s4, v3, 2
	s_delay_alu instid0(VALU_DEP_2) | instskip(NEXT) | instid1(VALU_DEP_1)
	v_sub_nc_u32_e32 v25, v41, v24
	v_subrev_co_ci_u32_e64 v25, s4, s29, v25, vcc_lo
	v_sub_co_u32 v27, s4, v23, s28
	v_sub_co_ci_u32_e32 v24, vcc_lo, v41, v24, vcc_lo
	s_delay_alu instid0(VALU_DEP_3) | instskip(NEXT) | instid1(VALU_DEP_3)
	v_subrev_co_ci_u32_e64 v25, s4, 0, v25, s4
	v_cmp_le_u32_e32 vcc_lo, s28, v27
	v_cndmask_b32_e64 v27, 0, -1, vcc_lo
	s_delay_alu instid0(VALU_DEP_3)
	v_cmp_le_u32_e32 vcc_lo, s29, v25
	v_cndmask_b32_e64 v28, 0, -1, vcc_lo
	v_cmp_le_u32_e32 vcc_lo, s28, v23
	v_cndmask_b32_e64 v23, 0, -1, vcc_lo
	;; [unrolled: 2-line block ×3, first 2 shown]
	v_cmp_eq_u32_e32 vcc_lo, s29, v25
	v_cndmask_b32_e32 v25, v28, v27, vcc_lo
	v_add_co_u32 v27, vcc_lo, v3, 1
	v_cmp_eq_u32_e32 vcc_lo, s29, v24
	v_cndmask_b32_e32 v23, v39, v23, vcc_lo
	s_delay_alu instid0(VALU_DEP_4) | instskip(NEXT) | instid1(VALU_DEP_4)
	v_cmp_ne_u32_e32 vcc_lo, 0, v25
	v_cndmask_b32_e32 v24, v27, v26, vcc_lo
	s_delay_alu instid0(VALU_DEP_3) | instskip(SKIP_1) | instid1(VALU_DEP_3)
	v_cmp_ne_u32_e32 vcc_lo, 0, v23
	v_xor_b32_e32 v23, s26, v38
	v_cndmask_b32_e32 v3, v3, v24, vcc_lo
	s_delay_alu instid0(VALU_DEP_1) | instskip(NEXT) | instid1(VALU_DEP_1)
	v_xor_b32_e32 v3, v3, v23
	v_sub_co_u32 v23, vcc_lo, v3, v23
.LBB10_71:                              ;   in Loop: Header=BB10_69 Depth=5
	s_or_saveexec_b32 s4, s34
	v_cvt_f32_u32_e32 v38, s42
	s_xor_b32 exec_lo, exec_lo, s4
	s_cbranch_execz .LBB10_73
; %bb.72:                               ;   in Loop: Header=BB10_69 Depth=5
	s_delay_alu instid0(VALU_DEP_1) | instskip(SKIP_3) | instid1(VALU_DEP_1)
	v_rcp_iflag_f32_e32 v3, v38
	s_sub_i32 s26, 0, s42
	s_waitcnt_depctr 0xfff
	v_mul_f32_e32 v3, 0x4f7ffffe, v3
	v_cvt_u32_f32_e32 v3, v3
	s_delay_alu instid0(VALU_DEP_1) | instskip(NEXT) | instid1(VALU_DEP_1)
	v_mul_lo_u32 v23, s26, v3
	v_mul_hi_u32 v23, v3, v23
	s_delay_alu instid0(VALU_DEP_1) | instskip(NEXT) | instid1(VALU_DEP_1)
	v_add_nc_u32_e32 v3, v3, v23
	v_mul_hi_u32 v3, v19, v3
	s_delay_alu instid0(VALU_DEP_1) | instskip(NEXT) | instid1(VALU_DEP_1)
	v_mul_lo_u32 v23, v3, s42
	v_sub_nc_u32_e32 v23, v19, v23
	s_delay_alu instid0(VALU_DEP_1) | instskip(SKIP_1) | instid1(VALU_DEP_2)
	v_subrev_nc_u32_e32 v25, s42, v23
	v_cmp_le_u32_e32 vcc_lo, s42, v23
	v_dual_cndmask_b32 v23, v23, v25 :: v_dual_add_nc_u32 v24, 1, v3
	s_delay_alu instid0(VALU_DEP_1) | instskip(NEXT) | instid1(VALU_DEP_2)
	v_cndmask_b32_e32 v3, v3, v24, vcc_lo
	v_cmp_le_u32_e32 vcc_lo, s42, v23
	s_delay_alu instid0(VALU_DEP_2) | instskip(NEXT) | instid1(VALU_DEP_1)
	v_add_nc_u32_e32 v24, 1, v3
	v_cndmask_b32_e32 v23, v3, v24, vcc_lo
.LBB10_73:                              ;   in Loop: Header=BB10_69 Depth=5
	s_or_b32 exec_lo, exec_lo, s4
	v_or_b32_e32 v3, s46, v22
                                        ; implicit-def: $vgpr24_vgpr25
	s_mov_b32 s4, exec_lo
	s_delay_alu instid0(VALU_DEP_1)
	v_cmpx_ne_u64_e32 0, v[2:3]
	s_xor_b32 s34, exec_lo, s4
	s_cbranch_execz .LBB10_75
; %bb.74:                               ;   in Loop: Header=BB10_69 Depth=5
	s_add_u32 s28, s42, s46
	s_mov_b32 s26, s46
	s_mov_b32 s27, s46
	s_addc_u32 s29, s46, s46
	s_delay_alu instid0(SALU_CYCLE_1) | instskip(NEXT) | instid1(SALU_CYCLE_1)
	s_xor_b64 s[28:29], s[28:29], s[26:27]
	v_cvt_f32_u32_e32 v3, s28
	v_cvt_f32_u32_e32 v24, s29
	s_sub_u32 s4, 0, s28
	s_subb_u32 s35, 0, s29
	s_delay_alu instid0(VALU_DEP_1) | instskip(NEXT) | instid1(VALU_DEP_1)
	v_fmac_f32_e32 v3, 0x4f800000, v24
	v_rcp_f32_e32 v3, v3
	s_waitcnt_depctr 0xfff
	v_mul_f32_e32 v3, 0x5f7ffffc, v3
	s_delay_alu instid0(VALU_DEP_1) | instskip(NEXT) | instid1(VALU_DEP_1)
	v_mul_f32_e32 v24, 0x2f800000, v3
	v_trunc_f32_e32 v24, v24
	s_delay_alu instid0(VALU_DEP_1) | instskip(SKIP_1) | instid1(VALU_DEP_2)
	v_fmac_f32_e32 v3, 0xcf800000, v24
	v_cvt_u32_f32_e32 v24, v24
	v_cvt_u32_f32_e32 v3, v3
	s_delay_alu instid0(VALU_DEP_2) | instskip(NEXT) | instid1(VALU_DEP_2)
	v_mul_lo_u32 v25, s4, v24
	v_mul_hi_u32 v26, s4, v3
	v_mul_lo_u32 v27, s35, v3
	s_delay_alu instid0(VALU_DEP_2) | instskip(SKIP_1) | instid1(VALU_DEP_2)
	v_add_nc_u32_e32 v25, v26, v25
	v_mul_lo_u32 v26, s4, v3
	v_add_nc_u32_e32 v25, v25, v27
	s_delay_alu instid0(VALU_DEP_2) | instskip(NEXT) | instid1(VALU_DEP_2)
	v_mul_hi_u32 v27, v3, v26
	v_mul_lo_u32 v28, v3, v25
	v_mul_hi_u32 v39, v3, v25
	v_mul_hi_u32 v40, v24, v26
	v_mul_lo_u32 v26, v24, v26
	v_mul_hi_u32 v41, v24, v25
	v_mul_lo_u32 v25, v24, v25
	v_add_co_u32 v27, vcc_lo, v27, v28
	v_add_co_ci_u32_e32 v28, vcc_lo, 0, v39, vcc_lo
	s_delay_alu instid0(VALU_DEP_2) | instskip(NEXT) | instid1(VALU_DEP_2)
	v_add_co_u32 v26, vcc_lo, v27, v26
	v_add_co_ci_u32_e32 v26, vcc_lo, v28, v40, vcc_lo
	v_add_co_ci_u32_e32 v27, vcc_lo, 0, v41, vcc_lo
	v_ashrrev_i32_e32 v41, 31, v22
	s_delay_alu instid0(VALU_DEP_3) | instskip(NEXT) | instid1(VALU_DEP_3)
	v_add_co_u32 v25, vcc_lo, v26, v25
	v_add_co_ci_u32_e32 v26, vcc_lo, 0, v27, vcc_lo
	s_delay_alu instid0(VALU_DEP_2) | instskip(NEXT) | instid1(VALU_DEP_2)
	v_add_co_u32 v3, vcc_lo, v3, v25
	v_add_co_ci_u32_e32 v24, vcc_lo, v24, v26, vcc_lo
	s_delay_alu instid0(VALU_DEP_2) | instskip(SKIP_1) | instid1(VALU_DEP_3)
	v_mul_hi_u32 v25, s4, v3
	v_mul_lo_u32 v27, s35, v3
	v_mul_lo_u32 v26, s4, v24
	s_delay_alu instid0(VALU_DEP_1) | instskip(SKIP_1) | instid1(VALU_DEP_2)
	v_add_nc_u32_e32 v25, v25, v26
	v_mul_lo_u32 v26, s4, v3
	v_add_nc_u32_e32 v25, v25, v27
	s_delay_alu instid0(VALU_DEP_2) | instskip(NEXT) | instid1(VALU_DEP_2)
	v_mul_hi_u32 v27, v3, v26
	v_mul_lo_u32 v28, v3, v25
	v_mul_hi_u32 v39, v3, v25
	v_mul_hi_u32 v40, v24, v26
	v_mul_lo_u32 v26, v24, v26
	v_mul_hi_u32 v42, v24, v25
	v_mul_lo_u32 v25, v24, v25
	v_add_co_u32 v27, vcc_lo, v27, v28
	v_add_co_ci_u32_e32 v28, vcc_lo, 0, v39, vcc_lo
	s_delay_alu instid0(VALU_DEP_2) | instskip(NEXT) | instid1(VALU_DEP_2)
	v_add_co_u32 v26, vcc_lo, v27, v26
	v_add_co_ci_u32_e32 v26, vcc_lo, v28, v40, vcc_lo
	v_add_co_ci_u32_e32 v27, vcc_lo, 0, v42, vcc_lo
	v_add_co_u32 v28, vcc_lo, v21, v41
	v_add_co_ci_u32_e32 v39, vcc_lo, v22, v41, vcc_lo
	s_delay_alu instid0(VALU_DEP_4) | instskip(NEXT) | instid1(VALU_DEP_4)
	v_add_co_u32 v25, vcc_lo, v26, v25
	v_add_co_ci_u32_e32 v26, vcc_lo, 0, v27, vcc_lo
	s_delay_alu instid0(VALU_DEP_4) | instskip(NEXT) | instid1(VALU_DEP_3)
	v_xor_b32_e32 v28, v28, v41
	v_add_co_u32 v3, vcc_lo, v3, v25
	s_delay_alu instid0(VALU_DEP_3) | instskip(SKIP_1) | instid1(VALU_DEP_3)
	v_add_co_ci_u32_e32 v42, vcc_lo, v24, v26, vcc_lo
	v_xor_b32_e32 v43, v39, v41
	v_mul_hi_u32 v44, v28, v3
	s_delay_alu instid0(VALU_DEP_3) | instskip(NEXT) | instid1(VALU_DEP_3)
	v_mad_u64_u32 v[24:25], null, v28, v42, 0
	v_mad_u64_u32 v[26:27], null, v43, v3, 0
	;; [unrolled: 1-line block ×3, first 2 shown]
	s_delay_alu instid0(VALU_DEP_3) | instskip(NEXT) | instid1(VALU_DEP_4)
	v_add_co_u32 v3, vcc_lo, v44, v24
	v_add_co_ci_u32_e32 v24, vcc_lo, 0, v25, vcc_lo
	s_delay_alu instid0(VALU_DEP_2) | instskip(NEXT) | instid1(VALU_DEP_2)
	v_add_co_u32 v3, vcc_lo, v3, v26
	v_add_co_ci_u32_e32 v3, vcc_lo, v24, v27, vcc_lo
	v_add_co_ci_u32_e32 v24, vcc_lo, 0, v40, vcc_lo
	s_delay_alu instid0(VALU_DEP_2) | instskip(NEXT) | instid1(VALU_DEP_2)
	v_add_co_u32 v3, vcc_lo, v3, v39
	v_add_co_ci_u32_e32 v26, vcc_lo, 0, v24, vcc_lo
	s_delay_alu instid0(VALU_DEP_2) | instskip(SKIP_1) | instid1(VALU_DEP_3)
	v_mul_lo_u32 v27, s29, v3
	v_mad_u64_u32 v[24:25], null, s28, v3, 0
	v_mul_lo_u32 v39, s28, v26
	s_delay_alu instid0(VALU_DEP_2) | instskip(NEXT) | instid1(VALU_DEP_2)
	v_sub_co_u32 v24, vcc_lo, v28, v24
	v_add3_u32 v25, v25, v39, v27
	s_delay_alu instid0(VALU_DEP_1) | instskip(NEXT) | instid1(VALU_DEP_1)
	v_sub_nc_u32_e32 v27, v43, v25
	v_subrev_co_ci_u32_e64 v27, s4, s29, v27, vcc_lo
	v_add_co_u32 v28, s4, v3, 2
	s_delay_alu instid0(VALU_DEP_1) | instskip(SKIP_3) | instid1(VALU_DEP_3)
	v_add_co_ci_u32_e64 v39, s4, 0, v26, s4
	v_sub_co_u32 v40, s4, v24, s28
	v_sub_co_ci_u32_e32 v25, vcc_lo, v43, v25, vcc_lo
	v_subrev_co_ci_u32_e64 v27, s4, 0, v27, s4
	v_cmp_le_u32_e32 vcc_lo, s28, v40
	s_delay_alu instid0(VALU_DEP_3) | instskip(SKIP_1) | instid1(VALU_DEP_4)
	v_cmp_eq_u32_e64 s4, s29, v25
	v_cndmask_b32_e64 v40, 0, -1, vcc_lo
	v_cmp_le_u32_e32 vcc_lo, s29, v27
	v_cndmask_b32_e64 v42, 0, -1, vcc_lo
	v_cmp_le_u32_e32 vcc_lo, s28, v24
	;; [unrolled: 2-line block ×3, first 2 shown]
	v_cndmask_b32_e64 v43, 0, -1, vcc_lo
	v_cmp_eq_u32_e32 vcc_lo, s29, v27
	s_delay_alu instid0(VALU_DEP_2) | instskip(SKIP_3) | instid1(VALU_DEP_3)
	v_cndmask_b32_e64 v24, v43, v24, s4
	v_cndmask_b32_e32 v27, v42, v40, vcc_lo
	v_add_co_u32 v40, vcc_lo, v3, 1
	v_add_co_ci_u32_e32 v42, vcc_lo, 0, v26, vcc_lo
	v_cmp_ne_u32_e32 vcc_lo, 0, v27
	s_delay_alu instid0(VALU_DEP_2) | instskip(NEXT) | instid1(VALU_DEP_4)
	v_cndmask_b32_e32 v25, v42, v39, vcc_lo
	v_cndmask_b32_e32 v27, v40, v28, vcc_lo
	v_cmp_ne_u32_e32 vcc_lo, 0, v24
	v_xor_b32_e32 v24, s26, v41
	s_delay_alu instid0(VALU_DEP_3) | instskip(SKIP_2) | instid1(VALU_DEP_3)
	v_cndmask_b32_e32 v3, v3, v27, vcc_lo
	v_cndmask_b32_e32 v25, v26, v25, vcc_lo
	v_xor_b32_e32 v26, s27, v41
	v_xor_b32_e32 v3, v3, v24
	s_delay_alu instid0(VALU_DEP_2) | instskip(NEXT) | instid1(VALU_DEP_2)
	v_xor_b32_e32 v25, v25, v26
	v_sub_co_u32 v24, vcc_lo, v3, v24
	s_delay_alu instid0(VALU_DEP_2)
	v_sub_co_ci_u32_e32 v25, vcc_lo, v25, v26, vcc_lo
.LBB10_75:                              ;   in Loop: Header=BB10_69 Depth=5
	s_and_not1_saveexec_b32 s4, s34
	s_cbranch_execz .LBB10_77
; %bb.76:                               ;   in Loop: Header=BB10_69 Depth=5
	v_rcp_iflag_f32_e32 v3, v38
	s_sub_i32 s26, 0, s42
	s_waitcnt_depctr 0xfff
	v_mul_f32_e32 v3, 0x4f7ffffe, v3
	s_delay_alu instid0(VALU_DEP_1) | instskip(NEXT) | instid1(VALU_DEP_1)
	v_cvt_u32_f32_e32 v3, v3
	v_mul_lo_u32 v24, s26, v3
	s_delay_alu instid0(VALU_DEP_1) | instskip(NEXT) | instid1(VALU_DEP_1)
	v_mul_hi_u32 v24, v3, v24
	v_add_nc_u32_e32 v3, v3, v24
	s_delay_alu instid0(VALU_DEP_1) | instskip(NEXT) | instid1(VALU_DEP_1)
	v_mul_hi_u32 v3, v21, v3
	v_mul_lo_u32 v24, v3, s42
	v_add_nc_u32_e32 v25, 1, v3
	s_delay_alu instid0(VALU_DEP_2) | instskip(NEXT) | instid1(VALU_DEP_1)
	v_sub_nc_u32_e32 v24, v21, v24
	v_subrev_nc_u32_e32 v26, s42, v24
	v_cmp_le_u32_e32 vcc_lo, s42, v24
	s_delay_alu instid0(VALU_DEP_2) | instskip(NEXT) | instid1(VALU_DEP_1)
	v_dual_cndmask_b32 v24, v24, v26 :: v_dual_cndmask_b32 v3, v3, v25
	v_cmp_le_u32_e32 vcc_lo, s42, v24
	s_delay_alu instid0(VALU_DEP_2) | instskip(NEXT) | instid1(VALU_DEP_1)
	v_add_nc_u32_e32 v25, 1, v3
	v_dual_cndmask_b32 v24, v3, v25 :: v_dual_mov_b32 v25, v2
.LBB10_77:                              ;   in Loop: Header=BB10_69 Depth=5
	s_or_b32 exec_lo, exec_lo, s4
	s_delay_alu instid0(VALU_DEP_1) | instskip(NEXT) | instid1(VALU_DEP_2)
	v_mul_lo_u32 v3, v25, s42
	v_mul_lo_u32 v27, v24, s46
	v_mad_u64_u32 v[25:26], null, v24, s42, 0
	s_mov_b32 s4, exec_lo
	s_delay_alu instid0(VALU_DEP_1) | instskip(NEXT) | instid1(VALU_DEP_2)
	v_add3_u32 v3, v26, v27, v3
	v_sub_co_u32 v27, vcc_lo, v21, v25
	s_delay_alu instid0(VALU_DEP_2) | instskip(NEXT) | instid1(VALU_DEP_2)
	v_sub_co_ci_u32_e32 v3, vcc_lo, v22, v3, vcc_lo
	v_mul_lo_u32 v28, v27, s33
	v_mad_u64_u32 v[25:26], null, v27, s40, 0
	s_delay_alu instid0(VALU_DEP_3) | instskip(NEXT) | instid1(VALU_DEP_1)
	v_mul_lo_u32 v3, v3, s40
	v_add3_u32 v26, v26, v28, v3
                                        ; implicit-def: $vgpr27_vgpr28
	s_delay_alu instid0(VALU_DEP_1) | instskip(NEXT) | instid1(VALU_DEP_1)
	v_or_b32_e32 v3, s46, v26
	v_cmpx_ne_u64_e32 0, v[2:3]
	s_xor_b32 s34, exec_lo, s4
	s_cbranch_execz .LBB10_79
; %bb.78:                               ;   in Loop: Header=BB10_69 Depth=5
	s_add_u32 s28, s42, s46
	s_mov_b32 s26, s46
	s_mov_b32 s27, s46
	s_addc_u32 s29, s46, s46
	s_delay_alu instid0(SALU_CYCLE_1) | instskip(NEXT) | instid1(SALU_CYCLE_1)
	s_xor_b64 s[28:29], s[28:29], s[26:27]
	v_cvt_f32_u32_e32 v3, s28
	v_cvt_f32_u32_e32 v27, s29
	s_sub_u32 s4, 0, s28
	s_subb_u32 s27, 0, s29
	s_delay_alu instid0(VALU_DEP_1) | instskip(NEXT) | instid1(VALU_DEP_1)
	v_fmac_f32_e32 v3, 0x4f800000, v27
	v_rcp_f32_e32 v3, v3
	s_waitcnt_depctr 0xfff
	v_mul_f32_e32 v3, 0x5f7ffffc, v3
	s_delay_alu instid0(VALU_DEP_1) | instskip(NEXT) | instid1(VALU_DEP_1)
	v_mul_f32_e32 v27, 0x2f800000, v3
	v_trunc_f32_e32 v27, v27
	s_delay_alu instid0(VALU_DEP_1) | instskip(SKIP_1) | instid1(VALU_DEP_2)
	v_fmac_f32_e32 v3, 0xcf800000, v27
	v_cvt_u32_f32_e32 v27, v27
	v_cvt_u32_f32_e32 v3, v3
	s_delay_alu instid0(VALU_DEP_2) | instskip(NEXT) | instid1(VALU_DEP_2)
	v_mul_lo_u32 v28, s4, v27
	v_mul_hi_u32 v38, s4, v3
	v_mul_lo_u32 v39, s27, v3
	s_delay_alu instid0(VALU_DEP_2) | instskip(SKIP_1) | instid1(VALU_DEP_2)
	v_add_nc_u32_e32 v28, v38, v28
	v_mul_lo_u32 v38, s4, v3
	v_add_nc_u32_e32 v28, v28, v39
	s_delay_alu instid0(VALU_DEP_2) | instskip(NEXT) | instid1(VALU_DEP_2)
	v_mul_hi_u32 v39, v3, v38
	v_mul_lo_u32 v40, v3, v28
	v_mul_hi_u32 v41, v3, v28
	v_mul_hi_u32 v42, v27, v38
	v_mul_lo_u32 v38, v27, v38
	v_mul_hi_u32 v43, v27, v28
	v_mul_lo_u32 v28, v27, v28
	v_add_co_u32 v39, vcc_lo, v39, v40
	v_add_co_ci_u32_e32 v40, vcc_lo, 0, v41, vcc_lo
	s_delay_alu instid0(VALU_DEP_2) | instskip(NEXT) | instid1(VALU_DEP_2)
	v_add_co_u32 v38, vcc_lo, v39, v38
	v_add_co_ci_u32_e32 v38, vcc_lo, v40, v42, vcc_lo
	v_add_co_ci_u32_e32 v39, vcc_lo, 0, v43, vcc_lo
	v_ashrrev_i32_e32 v42, 31, v26
	s_delay_alu instid0(VALU_DEP_3) | instskip(NEXT) | instid1(VALU_DEP_3)
	v_add_co_u32 v28, vcc_lo, v38, v28
	v_add_co_ci_u32_e32 v38, vcc_lo, 0, v39, vcc_lo
	s_delay_alu instid0(VALU_DEP_2) | instskip(NEXT) | instid1(VALU_DEP_2)
	v_add_co_u32 v3, vcc_lo, v3, v28
	v_add_co_ci_u32_e32 v27, vcc_lo, v27, v38, vcc_lo
	s_delay_alu instid0(VALU_DEP_2) | instskip(SKIP_1) | instid1(VALU_DEP_3)
	v_mul_hi_u32 v28, s4, v3
	v_mul_lo_u32 v39, s27, v3
	v_mul_lo_u32 v38, s4, v27
	s_delay_alu instid0(VALU_DEP_1) | instskip(SKIP_1) | instid1(VALU_DEP_2)
	v_add_nc_u32_e32 v28, v28, v38
	v_mul_lo_u32 v38, s4, v3
	v_add_nc_u32_e32 v28, v28, v39
	s_delay_alu instid0(VALU_DEP_2) | instskip(NEXT) | instid1(VALU_DEP_2)
	v_mul_hi_u32 v39, v3, v38
	v_mul_lo_u32 v40, v3, v28
	v_mul_hi_u32 v41, v3, v28
	v_mul_hi_u32 v43, v27, v38
	v_mul_lo_u32 v38, v27, v38
	v_mul_hi_u32 v44, v27, v28
	v_mul_lo_u32 v28, v27, v28
	v_add_co_u32 v39, vcc_lo, v39, v40
	v_add_co_ci_u32_e32 v40, vcc_lo, 0, v41, vcc_lo
	s_delay_alu instid0(VALU_DEP_2) | instskip(NEXT) | instid1(VALU_DEP_2)
	v_add_co_u32 v38, vcc_lo, v39, v38
	v_add_co_ci_u32_e32 v38, vcc_lo, v40, v43, vcc_lo
	v_add_co_ci_u32_e32 v39, vcc_lo, 0, v44, vcc_lo
	v_add_co_u32 v25, vcc_lo, v25, v42
	v_add_co_ci_u32_e32 v26, vcc_lo, v26, v42, vcc_lo
	s_delay_alu instid0(VALU_DEP_4) | instskip(NEXT) | instid1(VALU_DEP_4)
	v_add_co_u32 v28, vcc_lo, v38, v28
	v_add_co_ci_u32_e32 v38, vcc_lo, 0, v39, vcc_lo
	s_delay_alu instid0(VALU_DEP_4) | instskip(NEXT) | instid1(VALU_DEP_3)
	v_xor_b32_e32 v40, v25, v42
	v_add_co_u32 v3, vcc_lo, v3, v28
	s_delay_alu instid0(VALU_DEP_3) | instskip(SKIP_1) | instid1(VALU_DEP_3)
	v_add_co_ci_u32_e32 v41, vcc_lo, v27, v38, vcc_lo
	v_xor_b32_e32 v43, v26, v42
	v_mul_hi_u32 v44, v40, v3
	s_delay_alu instid0(VALU_DEP_3) | instskip(NEXT) | instid1(VALU_DEP_3)
	v_mad_u64_u32 v[25:26], null, v40, v41, 0
	v_mad_u64_u32 v[27:28], null, v43, v3, 0
	;; [unrolled: 1-line block ×3, first 2 shown]
	s_delay_alu instid0(VALU_DEP_3) | instskip(NEXT) | instid1(VALU_DEP_4)
	v_add_co_u32 v3, vcc_lo, v44, v25
	v_add_co_ci_u32_e32 v25, vcc_lo, 0, v26, vcc_lo
	s_delay_alu instid0(VALU_DEP_2) | instskip(NEXT) | instid1(VALU_DEP_2)
	v_add_co_u32 v3, vcc_lo, v3, v27
	v_add_co_ci_u32_e32 v3, vcc_lo, v25, v28, vcc_lo
	v_add_co_ci_u32_e32 v25, vcc_lo, 0, v39, vcc_lo
	s_delay_alu instid0(VALU_DEP_2) | instskip(NEXT) | instid1(VALU_DEP_2)
	v_add_co_u32 v3, vcc_lo, v3, v38
	v_add_co_ci_u32_e32 v27, vcc_lo, 0, v25, vcc_lo
	s_delay_alu instid0(VALU_DEP_2) | instskip(SKIP_1) | instid1(VALU_DEP_3)
	v_mul_lo_u32 v28, s29, v3
	v_mad_u64_u32 v[25:26], null, s28, v3, 0
	v_mul_lo_u32 v27, s28, v27
	s_delay_alu instid0(VALU_DEP_2) | instskip(NEXT) | instid1(VALU_DEP_2)
	v_sub_co_u32 v25, vcc_lo, v40, v25
	v_add3_u32 v26, v26, v27, v28
	v_add_co_u32 v28, s4, v3, 2
	s_delay_alu instid0(VALU_DEP_2) | instskip(NEXT) | instid1(VALU_DEP_1)
	v_sub_nc_u32_e32 v27, v43, v26
	v_subrev_co_ci_u32_e64 v27, s4, s29, v27, vcc_lo
	v_sub_co_u32 v38, s4, v25, s28
	v_sub_co_ci_u32_e32 v26, vcc_lo, v43, v26, vcc_lo
	s_delay_alu instid0(VALU_DEP_3) | instskip(NEXT) | instid1(VALU_DEP_3)
	v_subrev_co_ci_u32_e64 v27, s4, 0, v27, s4
	v_cmp_le_u32_e32 vcc_lo, s28, v38
	v_cndmask_b32_e64 v38, 0, -1, vcc_lo
	s_delay_alu instid0(VALU_DEP_3)
	v_cmp_le_u32_e32 vcc_lo, s29, v27
	v_cndmask_b32_e64 v39, 0, -1, vcc_lo
	v_cmp_le_u32_e32 vcc_lo, s28, v25
	v_cndmask_b32_e64 v25, 0, -1, vcc_lo
	;; [unrolled: 2-line block ×3, first 2 shown]
	v_cmp_eq_u32_e32 vcc_lo, s29, v27
	v_cndmask_b32_e32 v27, v39, v38, vcc_lo
	v_add_co_u32 v38, vcc_lo, v3, 1
	v_cmp_eq_u32_e32 vcc_lo, s29, v26
	v_cndmask_b32_e32 v25, v40, v25, vcc_lo
	s_delay_alu instid0(VALU_DEP_4) | instskip(NEXT) | instid1(VALU_DEP_4)
	v_cmp_ne_u32_e32 vcc_lo, 0, v27
	v_cndmask_b32_e32 v26, v38, v28, vcc_lo
	s_delay_alu instid0(VALU_DEP_3) | instskip(SKIP_1) | instid1(VALU_DEP_3)
	v_cmp_ne_u32_e32 vcc_lo, 0, v25
	v_xor_b32_e32 v25, s26, v42
                                        ; implicit-def: $vgpr38
	v_cndmask_b32_e32 v3, v3, v26, vcc_lo
	s_delay_alu instid0(VALU_DEP_1) | instskip(NEXT) | instid1(VALU_DEP_1)
	v_xor_b32_e32 v3, v3, v25
	v_sub_co_u32 v27, vcc_lo, v3, v25
                                        ; implicit-def: $vgpr25_vgpr26
.LBB10_79:                              ;   in Loop: Header=BB10_69 Depth=5
	s_and_not1_saveexec_b32 s4, s34
	s_cbranch_execz .LBB10_68
; %bb.80:                               ;   in Loop: Header=BB10_69 Depth=5
	v_rcp_iflag_f32_e32 v3, v38
	s_sub_i32 s26, 0, s42
	s_waitcnt_depctr 0xfff
	v_mul_f32_e32 v3, 0x4f7ffffe, v3
	s_delay_alu instid0(VALU_DEP_1) | instskip(NEXT) | instid1(VALU_DEP_1)
	v_cvt_u32_f32_e32 v3, v3
	v_mul_lo_u32 v26, s26, v3
	s_delay_alu instid0(VALU_DEP_1) | instskip(NEXT) | instid1(VALU_DEP_1)
	v_mul_hi_u32 v26, v3, v26
	v_add_nc_u32_e32 v3, v3, v26
	s_delay_alu instid0(VALU_DEP_1) | instskip(NEXT) | instid1(VALU_DEP_1)
	v_mul_hi_u32 v3, v25, v3
	v_mul_lo_u32 v26, v3, s42
	s_delay_alu instid0(VALU_DEP_1) | instskip(SKIP_1) | instid1(VALU_DEP_2)
	v_sub_nc_u32_e32 v25, v25, v26
	v_add_nc_u32_e32 v26, 1, v3
	v_subrev_nc_u32_e32 v27, s42, v25
	v_cmp_le_u32_e32 vcc_lo, s42, v25
	s_delay_alu instid0(VALU_DEP_2) | instskip(NEXT) | instid1(VALU_DEP_4)
	v_cndmask_b32_e32 v25, v25, v27, vcc_lo
	v_cndmask_b32_e32 v3, v3, v26, vcc_lo
	s_delay_alu instid0(VALU_DEP_2) | instskip(NEXT) | instid1(VALU_DEP_2)
	v_cmp_le_u32_e32 vcc_lo, s42, v25
	v_add_nc_u32_e32 v26, 1, v3
	s_delay_alu instid0(VALU_DEP_1)
	v_cndmask_b32_e32 v27, v3, v26, vcc_lo
	s_branch .LBB10_68
.LBB10_81:                              ;   in Loop: Header=BB10_42 Depth=3
                                        ; implicit-def: $vgpr15_vgpr16
	v_cvt_f32_u32_e32 v0, s12
	s_branch .LBB10_44
.LBB10_82:                              ;   in Loop: Header=BB10_42 Depth=3
                                        ; implicit-def: $sgpr26_sgpr27
	s_branch .LBB10_47
.LBB10_83:                              ;   in Loop: Header=BB10_42 Depth=3
                                        ; implicit-def: $vgpr16_vgpr17
	s_branch .LBB10_50
.LBB10_84:
	s_nop 0
	s_sendmsg sendmsg(MSG_DEALLOC_VGPRS)
	s_endpgm
.LBB10_85:
                                        ; implicit-def: $sgpr20_sgpr21
	v_cvt_f32_u32_e32 v1, s10
	s_branch .LBB10_2
.LBB10_86:
                                        ; implicit-def: $sgpr16_sgpr17
	s_branch .LBB10_5
.LBB10_87:
                                        ; implicit-def: $vgpr3_vgpr4
	s_load_b32 s2, s[0:1], 0x3c
	s_branch .LBB10_8
	.section	.rodata,"a",@progbits
	.p2align	6, 0x0
	.amdhsa_kernel _ZN2at6native12_GLOBAL__N_124adaptiveaveragegradinputIN3c104HalfEfEEvPT_PKS5_iiiiiil
		.amdhsa_group_segment_fixed_size 0
		.amdhsa_private_segment_fixed_size 0
		.amdhsa_kernarg_size 304
		.amdhsa_user_sgpr_count 14
		.amdhsa_user_sgpr_dispatch_ptr 0
		.amdhsa_user_sgpr_queue_ptr 0
		.amdhsa_user_sgpr_kernarg_segment_ptr 1
		.amdhsa_user_sgpr_dispatch_id 0
		.amdhsa_user_sgpr_private_segment_size 0
		.amdhsa_wavefront_size32 1
		.amdhsa_uses_dynamic_stack 0
		.amdhsa_enable_private_segment 0
		.amdhsa_system_sgpr_workgroup_id_x 1
		.amdhsa_system_sgpr_workgroup_id_y 1
		.amdhsa_system_sgpr_workgroup_id_z 0
		.amdhsa_system_sgpr_workgroup_info 0
		.amdhsa_system_vgpr_workitem_id 1
		.amdhsa_next_free_vgpr 45
		.amdhsa_next_free_sgpr 56
		.amdhsa_reserve_vcc 1
		.amdhsa_float_round_mode_32 0
		.amdhsa_float_round_mode_16_64 0
		.amdhsa_float_denorm_mode_32 3
		.amdhsa_float_denorm_mode_16_64 3
		.amdhsa_dx10_clamp 1
		.amdhsa_ieee_mode 1
		.amdhsa_fp16_overflow 0
		.amdhsa_workgroup_processor_mode 1
		.amdhsa_memory_ordered 1
		.amdhsa_forward_progress 0
		.amdhsa_shared_vgpr_count 0
		.amdhsa_exception_fp_ieee_invalid_op 0
		.amdhsa_exception_fp_denorm_src 0
		.amdhsa_exception_fp_ieee_div_zero 0
		.amdhsa_exception_fp_ieee_overflow 0
		.amdhsa_exception_fp_ieee_underflow 0
		.amdhsa_exception_fp_ieee_inexact 0
		.amdhsa_exception_int_div_zero 0
	.end_amdhsa_kernel
	.section	.text._ZN2at6native12_GLOBAL__N_124adaptiveaveragegradinputIN3c104HalfEfEEvPT_PKS5_iiiiiil,"axG",@progbits,_ZN2at6native12_GLOBAL__N_124adaptiveaveragegradinputIN3c104HalfEfEEvPT_PKS5_iiiiiil,comdat
.Lfunc_end10:
	.size	_ZN2at6native12_GLOBAL__N_124adaptiveaveragegradinputIN3c104HalfEfEEvPT_PKS5_iiiiiil, .Lfunc_end10-_ZN2at6native12_GLOBAL__N_124adaptiveaveragegradinputIN3c104HalfEfEEvPT_PKS5_iiiiiil
                                        ; -- End function
	.section	.AMDGPU.csdata,"",@progbits
; Kernel info:
; codeLenInByte = 17412
; NumSgprs: 58
; NumVgprs: 45
; ScratchSize: 0
; MemoryBound: 0
; FloatMode: 240
; IeeeMode: 1
; LDSByteSize: 0 bytes/workgroup (compile time only)
; SGPRBlocks: 7
; VGPRBlocks: 5
; NumSGPRsForWavesPerEU: 58
; NumVGPRsForWavesPerEU: 45
; Occupancy: 16
; WaveLimiterHint : 0
; COMPUTE_PGM_RSRC2:SCRATCH_EN: 0
; COMPUTE_PGM_RSRC2:USER_SGPR: 14
; COMPUTE_PGM_RSRC2:TRAP_HANDLER: 0
; COMPUTE_PGM_RSRC2:TGID_X_EN: 1
; COMPUTE_PGM_RSRC2:TGID_Y_EN: 1
; COMPUTE_PGM_RSRC2:TGID_Z_EN: 0
; COMPUTE_PGM_RSRC2:TIDIG_COMP_CNT: 1
	.section	.text._ZN2at6native12_GLOBAL__N_124adaptiveaveragegradinputIN3c108BFloat16EfEEvPT_PKS5_iiiiiil,"axG",@progbits,_ZN2at6native12_GLOBAL__N_124adaptiveaveragegradinputIN3c108BFloat16EfEEvPT_PKS5_iiiiiil,comdat
	.globl	_ZN2at6native12_GLOBAL__N_124adaptiveaveragegradinputIN3c108BFloat16EfEEvPT_PKS5_iiiiiil ; -- Begin function _ZN2at6native12_GLOBAL__N_124adaptiveaveragegradinputIN3c108BFloat16EfEEvPT_PKS5_iiiiiil
	.p2align	8
	.type	_ZN2at6native12_GLOBAL__N_124adaptiveaveragegradinputIN3c108BFloat16EfEEvPT_PKS5_iiiiiil,@function
_ZN2at6native12_GLOBAL__N_124adaptiveaveragegradinputIN3c108BFloat16EfEEvPT_PKS5_iiiiiil: ; @_ZN2at6native12_GLOBAL__N_124adaptiveaveragegradinputIN3c108BFloat16EfEEvPT_PKS5_iiiiiil
; %bb.0:
	s_load_b256 s[4:11], s[0:1], 0x10
	s_waitcnt lgkmcnt(0)
	s_add_u32 s18, s14, s10
	s_addc_u32 s19, 0, s11
	s_ashr_i32 s11, s4, 31
	s_mov_b32 s10, s4
	s_delay_alu instid0(SALU_CYCLE_1) | instskip(SKIP_1) | instid1(SALU_CYCLE_1)
	s_or_b64 s[2:3], s[18:19], s[10:11]
	s_mov_b32 s2, 0
	s_cmp_lg_u64 s[2:3], 0
	s_cbranch_scc0 .LBB11_85
; %bb.1:
	s_add_u32 s16, s10, s11
	s_mov_b32 s12, s11
	s_mov_b32 s13, s11
	s_addc_u32 s17, s11, s11
	s_delay_alu instid0(SALU_CYCLE_1) | instskip(NEXT) | instid1(SALU_CYCLE_1)
	s_xor_b64 s[16:17], s[16:17], s[12:13]
	v_cvt_f32_u32_e32 v1, s16
	v_cvt_f32_u32_e32 v2, s17
	s_sub_u32 s14, 0, s16
	s_subb_u32 s20, 0, s17
	s_delay_alu instid0(VALU_DEP_1) | instskip(NEXT) | instid1(VALU_DEP_1)
	v_fmamk_f32 v1, v2, 0x4f800000, v1
	v_rcp_f32_e32 v1, v1
	s_waitcnt_depctr 0xfff
	v_mul_f32_e32 v1, 0x5f7ffffc, v1
	s_delay_alu instid0(VALU_DEP_1) | instskip(NEXT) | instid1(VALU_DEP_1)
	v_mul_f32_e32 v2, 0x2f800000, v1
	v_trunc_f32_e32 v2, v2
	s_delay_alu instid0(VALU_DEP_1) | instskip(SKIP_1) | instid1(VALU_DEP_2)
	v_fmamk_f32 v1, v2, 0xcf800000, v1
	v_cvt_u32_f32_e32 v2, v2
	v_cvt_u32_f32_e32 v1, v1
	s_delay_alu instid0(VALU_DEP_2) | instskip(NEXT) | instid1(VALU_DEP_2)
	v_readfirstlane_b32 s3, v2
	v_readfirstlane_b32 s4, v1
	s_delay_alu instid0(VALU_DEP_2) | instskip(NEXT) | instid1(VALU_DEP_1)
	s_mul_i32 s21, s14, s3
	s_mul_hi_u32 s23, s14, s4
	s_mul_i32 s22, s20, s4
	s_add_i32 s21, s23, s21
	s_mul_i32 s24, s14, s4
	s_add_i32 s21, s21, s22
	s_mul_hi_u32 s23, s4, s24
	s_mul_hi_u32 s25, s3, s24
	s_mul_i32 s22, s3, s24
	s_mul_hi_u32 s24, s4, s21
	s_mul_i32 s4, s4, s21
	s_mul_hi_u32 s26, s3, s21
	s_add_u32 s4, s23, s4
	s_addc_u32 s23, 0, s24
	s_add_u32 s4, s4, s22
	s_mul_i32 s21, s3, s21
	s_addc_u32 s4, s23, s25
	s_addc_u32 s22, s26, 0
	s_add_u32 s4, s4, s21
	s_addc_u32 s21, 0, s22
	v_add_co_u32 v1, s4, v1, s4
	s_delay_alu instid0(VALU_DEP_1) | instskip(SKIP_1) | instid1(VALU_DEP_1)
	s_cmp_lg_u32 s4, 0
	s_addc_u32 s3, s3, s21
	v_readfirstlane_b32 s4, v1
	s_mul_i32 s21, s14, s3
	s_delay_alu instid0(VALU_DEP_1)
	s_mul_hi_u32 s22, s14, s4
	s_mul_i32 s20, s20, s4
	s_add_i32 s21, s22, s21
	s_mul_i32 s14, s14, s4
	s_add_i32 s21, s21, s20
	s_mul_hi_u32 s22, s3, s14
	s_mul_i32 s23, s3, s14
	s_mul_hi_u32 s14, s4, s14
	s_mul_hi_u32 s24, s4, s21
	s_mul_i32 s4, s4, s21
	s_mul_hi_u32 s20, s3, s21
	s_add_u32 s4, s14, s4
	s_addc_u32 s14, 0, s24
	s_add_u32 s4, s4, s23
	s_mul_i32 s21, s3, s21
	s_addc_u32 s4, s14, s22
	s_addc_u32 s14, s20, 0
	s_add_u32 s4, s4, s21
	s_addc_u32 s14, 0, s14
	v_add_co_u32 v1, s4, v1, s4
	s_delay_alu instid0(VALU_DEP_1) | instskip(SKIP_2) | instid1(VALU_DEP_1)
	s_cmp_lg_u32 s4, 0
	s_addc_u32 s3, s3, s14
	s_ashr_i32 s20, s19, 31
	v_readfirstlane_b32 s4, v1
	s_add_u32 s22, s18, s20
	s_mov_b32 s21, s20
	s_addc_u32 s23, s19, s20
	s_delay_alu instid0(SALU_CYCLE_1) | instskip(NEXT) | instid1(SALU_CYCLE_1)
	s_xor_b64 s[22:23], s[22:23], s[20:21]
	s_mul_i32 s24, s22, s3
	s_mul_hi_u32 s25, s22, s4
	s_mul_hi_u32 s14, s22, s3
	;; [unrolled: 1-line block ×3, first 2 shown]
	s_mul_i32 s4, s23, s4
	s_add_u32 s24, s25, s24
	s_addc_u32 s14, 0, s14
	s_mul_hi_u32 s26, s23, s3
	s_add_u32 s4, s24, s4
	s_mul_i32 s3, s23, s3
	s_addc_u32 s4, s14, s27
	s_addc_u32 s14, s26, 0
	s_add_u32 s3, s4, s3
	s_addc_u32 s4, 0, s14
	s_mul_i32 s26, s16, s3
	s_mul_hi_u32 s14, s16, s3
	s_mul_i32 s25, s16, s4
	v_sub_co_u32 v1, s22, s22, s26
	s_mul_i32 s24, s17, s3
	s_add_i32 s14, s14, s25
	s_delay_alu instid0(SALU_CYCLE_1) | instskip(NEXT) | instid1(VALU_DEP_1)
	s_add_i32 s14, s14, s24
	v_sub_co_u32 v2, s25, v1, s16
	s_sub_i32 s24, s23, s14
	s_cmp_lg_u32 s22, 0
	s_subb_u32 s24, s24, s17
	s_cmp_lg_u32 s25, 0
	v_readfirstlane_b32 s25, v2
	s_subb_u32 s24, s24, 0
	s_delay_alu instid0(SALU_CYCLE_1) | instskip(SKIP_1) | instid1(VALU_DEP_1)
	s_cmp_ge_u32 s24, s17
	s_cselect_b32 s26, -1, 0
	s_cmp_ge_u32 s25, s16
	s_cselect_b32 s25, -1, 0
	s_cmp_eq_u32 s24, s17
	s_cselect_b32 s24, s25, s26
	s_add_u32 s25, s3, 1
	s_addc_u32 s26, s4, 0
	s_add_u32 s27, s3, 2
	s_addc_u32 s28, s4, 0
	s_cmp_lg_u32 s24, 0
	s_cselect_b32 s24, s27, s25
	s_cselect_b32 s25, s28, s26
	s_cmp_lg_u32 s22, 0
	v_readfirstlane_b32 s22, v1
	s_subb_u32 s14, s23, s14
	s_delay_alu instid0(SALU_CYCLE_1) | instskip(SKIP_1) | instid1(VALU_DEP_1)
	s_cmp_ge_u32 s14, s17
	s_cselect_b32 s23, -1, 0
	s_cmp_ge_u32 s22, s16
	s_cselect_b32 s16, -1, 0
	s_cmp_eq_u32 s14, s17
	s_cselect_b32 s14, s16, s23
	s_delay_alu instid0(SALU_CYCLE_1) | instskip(SKIP_3) | instid1(SALU_CYCLE_1)
	s_cmp_lg_u32 s14, 0
	s_cselect_b32 s17, s25, s4
	s_cselect_b32 s16, s24, s3
	s_xor_b64 s[12:13], s[20:21], s[12:13]
	s_xor_b64 s[16:17], s[16:17], s[12:13]
	s_delay_alu instid0(SALU_CYCLE_1)
	s_sub_u32 s20, s16, s12
	s_subb_u32 s21, s17, s13
	v_cvt_f32_u32_e32 v1, s10
	s_and_not1_b32 vcc_lo, exec_lo, s2
	s_cbranch_vccnz .LBB11_3
.LBB11_2:
	s_delay_alu instid0(VALU_DEP_1) | instskip(SKIP_4) | instid1(VALU_DEP_1)
	v_rcp_iflag_f32_e32 v2, v1
	s_sub_i32 s3, 0, s10
	s_mov_b32 s21, 0
	s_waitcnt_depctr 0xfff
	v_mul_f32_e32 v2, 0x4f7ffffe, v2
	v_cvt_u32_f32_e32 v2, v2
	s_delay_alu instid0(VALU_DEP_1) | instskip(NEXT) | instid1(VALU_DEP_1)
	v_readfirstlane_b32 s2, v2
	s_mul_i32 s3, s3, s2
	s_delay_alu instid0(SALU_CYCLE_1) | instskip(NEXT) | instid1(SALU_CYCLE_1)
	s_mul_hi_u32 s3, s2, s3
	s_add_i32 s2, s2, s3
	s_delay_alu instid0(SALU_CYCLE_1) | instskip(NEXT) | instid1(SALU_CYCLE_1)
	s_mul_hi_u32 s2, s18, s2
	s_mul_i32 s3, s2, s10
	s_add_i32 s4, s2, 1
	s_sub_i32 s3, s18, s3
	s_delay_alu instid0(SALU_CYCLE_1)
	s_sub_i32 s12, s3, s10
	s_cmp_ge_u32 s3, s10
	s_cselect_b32 s2, s4, s2
	s_cselect_b32 s3, s12, s3
	s_add_i32 s4, s2, 1
	s_cmp_ge_u32 s3, s10
	s_cselect_b32 s20, s4, s2
.LBB11_3:
	s_delay_alu instid0(SALU_CYCLE_1) | instskip(SKIP_4) | instid1(SALU_CYCLE_1)
	s_mul_i32 s2, s20, s11
	s_mul_hi_u32 s3, s20, s10
	s_mul_i32 s4, s20, s10
	s_add_i32 s2, s3, s2
	s_mul_i32 s3, s21, s10
	s_add_i32 s2, s2, s3
	s_sub_u32 s4, s18, s4
	s_subb_u32 s2, s19, s2
	s_ashr_i32 s13, s7, 31
	s_mul_hi_u32 s12, s4, s7
	s_mul_i32 s3, s4, s13
	s_mul_i32 s2, s2, s7
	s_add_i32 s3, s12, s3
	s_mov_b32 s12, s7
	s_add_i32 s3, s3, s2
	s_mul_i32 s2, s4, s7
	s_delay_alu instid0(SALU_CYCLE_1) | instskip(SKIP_1) | instid1(SALU_CYCLE_1)
	s_or_b64 s[22:23], s[2:3], s[10:11]
	s_mov_b32 s22, 0
	s_cmp_lg_u64 s[22:23], 0
	s_cbranch_scc0 .LBB11_86
; %bb.4:
	s_add_u32 s24, s10, s11
	s_mov_b32 s16, s11
	s_mov_b32 s17, s11
	s_addc_u32 s25, s11, s11
	s_delay_alu instid0(SALU_CYCLE_1) | instskip(NEXT) | instid1(SALU_CYCLE_1)
	s_xor_b64 s[24:25], s[24:25], s[16:17]
	v_cvt_f32_u32_e32 v2, s24
	v_cvt_f32_u32_e32 v3, s25
	s_sub_u32 s21, 0, s24
	s_subb_u32 s23, 0, s25
	s_delay_alu instid0(VALU_DEP_1) | instskip(NEXT) | instid1(VALU_DEP_1)
	v_fmamk_f32 v2, v3, 0x4f800000, v2
	v_rcp_f32_e32 v2, v2
	s_waitcnt_depctr 0xfff
	v_mul_f32_e32 v2, 0x5f7ffffc, v2
	s_delay_alu instid0(VALU_DEP_1) | instskip(NEXT) | instid1(VALU_DEP_1)
	v_mul_f32_e32 v3, 0x2f800000, v2
	v_trunc_f32_e32 v3, v3
	s_delay_alu instid0(VALU_DEP_1) | instskip(SKIP_1) | instid1(VALU_DEP_2)
	v_fmamk_f32 v2, v3, 0xcf800000, v2
	v_cvt_u32_f32_e32 v3, v3
	v_cvt_u32_f32_e32 v2, v2
	s_delay_alu instid0(VALU_DEP_2) | instskip(NEXT) | instid1(VALU_DEP_2)
	v_readfirstlane_b32 s4, v3
	v_readfirstlane_b32 s14, v2
	s_delay_alu instid0(VALU_DEP_2) | instskip(NEXT) | instid1(VALU_DEP_1)
	s_mul_i32 s26, s21, s4
	s_mul_hi_u32 s28, s21, s14
	s_mul_i32 s27, s23, s14
	s_add_i32 s26, s28, s26
	s_mul_i32 s29, s21, s14
	s_add_i32 s26, s26, s27
	s_mul_hi_u32 s28, s14, s29
	s_mul_hi_u32 s30, s4, s29
	s_mul_i32 s27, s4, s29
	s_mul_hi_u32 s29, s14, s26
	s_mul_i32 s14, s14, s26
	s_mul_hi_u32 s31, s4, s26
	s_add_u32 s14, s28, s14
	s_addc_u32 s28, 0, s29
	s_add_u32 s14, s14, s27
	s_mul_i32 s26, s4, s26
	s_addc_u32 s14, s28, s30
	s_addc_u32 s27, s31, 0
	s_add_u32 s14, s14, s26
	s_addc_u32 s26, 0, s27
	v_add_co_u32 v2, s14, v2, s14
	s_delay_alu instid0(VALU_DEP_1) | instskip(SKIP_1) | instid1(VALU_DEP_1)
	s_cmp_lg_u32 s14, 0
	s_addc_u32 s4, s4, s26
	v_readfirstlane_b32 s14, v2
	s_mul_i32 s26, s21, s4
	s_delay_alu instid0(VALU_DEP_1)
	s_mul_hi_u32 s27, s21, s14
	s_mul_i32 s23, s23, s14
	s_add_i32 s26, s27, s26
	s_mul_i32 s21, s21, s14
	s_add_i32 s26, s26, s23
	s_mul_hi_u32 s27, s4, s21
	s_mul_i32 s28, s4, s21
	s_mul_hi_u32 s21, s14, s21
	s_mul_hi_u32 s29, s14, s26
	s_mul_i32 s14, s14, s26
	s_mul_hi_u32 s23, s4, s26
	s_add_u32 s14, s21, s14
	s_addc_u32 s21, 0, s29
	s_add_u32 s14, s14, s28
	s_mul_i32 s26, s4, s26
	s_addc_u32 s14, s21, s27
	s_addc_u32 s21, s23, 0
	s_add_u32 s14, s14, s26
	s_addc_u32 s21, 0, s21
	v_add_co_u32 v2, s14, v2, s14
	s_delay_alu instid0(VALU_DEP_1) | instskip(SKIP_2) | instid1(VALU_DEP_1)
	s_cmp_lg_u32 s14, 0
	s_addc_u32 s4, s4, s21
	s_ashr_i32 s26, s3, 31
	v_readfirstlane_b32 s14, v2
	s_add_u32 s28, s2, s26
	s_mov_b32 s27, s26
	s_addc_u32 s29, s3, s26
	s_delay_alu instid0(SALU_CYCLE_1) | instskip(NEXT) | instid1(SALU_CYCLE_1)
	s_xor_b64 s[28:29], s[28:29], s[26:27]
	s_mul_i32 s23, s28, s4
	s_mul_hi_u32 s30, s28, s14
	s_mul_hi_u32 s21, s28, s4
	s_mul_hi_u32 s33, s29, s14
	s_mul_i32 s14, s29, s14
	s_add_u32 s23, s30, s23
	s_addc_u32 s21, 0, s21
	s_mul_hi_u32 s31, s29, s4
	s_add_u32 s14, s23, s14
	s_mul_i32 s4, s29, s4
	s_addc_u32 s14, s21, s33
	s_addc_u32 s21, s31, 0
	s_add_u32 s4, s14, s4
	s_addc_u32 s14, 0, s21
	s_mul_i32 s31, s24, s4
	s_mul_hi_u32 s21, s24, s4
	s_mul_i32 s30, s24, s14
	v_sub_co_u32 v2, s28, s28, s31
	s_mul_i32 s23, s25, s4
	s_add_i32 s21, s21, s30
	s_delay_alu instid0(SALU_CYCLE_1) | instskip(NEXT) | instid1(VALU_DEP_1)
	s_add_i32 s21, s21, s23
	v_sub_co_u32 v3, s30, v2, s24
	s_sub_i32 s23, s29, s21
	s_cmp_lg_u32 s28, 0
	s_subb_u32 s23, s23, s25
	s_cmp_lg_u32 s30, 0
	v_readfirstlane_b32 s30, v3
	s_subb_u32 s23, s23, 0
	s_delay_alu instid0(SALU_CYCLE_1) | instskip(SKIP_1) | instid1(VALU_DEP_1)
	s_cmp_ge_u32 s23, s25
	s_cselect_b32 s31, -1, 0
	s_cmp_ge_u32 s30, s24
	s_cselect_b32 s30, -1, 0
	s_cmp_eq_u32 s23, s25
	s_cselect_b32 s23, s30, s31
	s_add_u32 s30, s4, 1
	s_addc_u32 s31, s14, 0
	s_add_u32 s33, s4, 2
	s_addc_u32 s34, s14, 0
	s_cmp_lg_u32 s23, 0
	s_cselect_b32 s23, s33, s30
	s_cselect_b32 s30, s34, s31
	s_cmp_lg_u32 s28, 0
	v_readfirstlane_b32 s28, v2
	s_subb_u32 s21, s29, s21
	s_delay_alu instid0(SALU_CYCLE_1) | instskip(SKIP_1) | instid1(VALU_DEP_1)
	s_cmp_ge_u32 s21, s25
	s_cselect_b32 s29, -1, 0
	s_cmp_ge_u32 s28, s24
	s_cselect_b32 s24, -1, 0
	s_cmp_eq_u32 s21, s25
	s_cselect_b32 s21, s24, s29
	s_delay_alu instid0(SALU_CYCLE_1) | instskip(SKIP_3) | instid1(SALU_CYCLE_1)
	s_cmp_lg_u32 s21, 0
	s_cselect_b32 s25, s30, s14
	s_cselect_b32 s24, s23, s4
	s_xor_b64 s[16:17], s[26:27], s[16:17]
	s_xor_b64 s[24:25], s[24:25], s[16:17]
	s_delay_alu instid0(SALU_CYCLE_1)
	s_sub_u32 s16, s24, s16
	s_and_not1_b32 vcc_lo, exec_lo, s22
	s_cbranch_vccnz .LBB11_6
.LBB11_5:
	v_rcp_iflag_f32_e32 v2, v1
	s_sub_i32 s14, 0, s10
	s_waitcnt_depctr 0xfff
	v_mul_f32_e32 v2, 0x4f7ffffe, v2
	s_delay_alu instid0(VALU_DEP_1) | instskip(NEXT) | instid1(VALU_DEP_1)
	v_cvt_u32_f32_e32 v2, v2
	v_readfirstlane_b32 s4, v2
	s_delay_alu instid0(VALU_DEP_1) | instskip(NEXT) | instid1(SALU_CYCLE_1)
	s_mul_i32 s14, s14, s4
	s_mul_hi_u32 s14, s4, s14
	s_delay_alu instid0(SALU_CYCLE_1) | instskip(NEXT) | instid1(SALU_CYCLE_1)
	s_add_i32 s4, s4, s14
	s_mul_hi_u32 s4, s2, s4
	s_delay_alu instid0(SALU_CYCLE_1) | instskip(SKIP_2) | instid1(SALU_CYCLE_1)
	s_mul_i32 s14, s4, s10
	s_add_i32 s16, s4, 1
	s_sub_i32 s14, s2, s14
	s_sub_i32 s17, s14, s10
	s_cmp_ge_u32 s14, s10
	s_cselect_b32 s4, s16, s4
	s_cselect_b32 s14, s17, s14
	s_add_i32 s16, s4, 1
	s_cmp_ge_u32 s14, s10
	s_cselect_b32 s16, s16, s4
.LBB11_6:
	s_add_u32 s2, s2, s12
	s_addc_u32 s3, s3, s13
	s_add_u32 s22, s2, -1
	s_addc_u32 s23, s3, -1
	s_delay_alu instid0(SALU_CYCLE_1) | instskip(SKIP_1) | instid1(SALU_CYCLE_1)
	s_or_b64 s[24:25], s[22:23], s[10:11]
	s_mov_b32 s24, 0
	s_cmp_lg_u64 s[24:25], 0
	s_cbranch_scc0 .LBB11_87
; %bb.7:
	s_add_u32 s2, s10, s11
	s_mov_b32 s26, s11
	s_mov_b32 s27, s11
	s_addc_u32 s3, s11, s11
	s_delay_alu instid0(SALU_CYCLE_1) | instskip(NEXT) | instid1(SALU_CYCLE_1)
	s_xor_b64 s[2:3], s[2:3], s[26:27]
	v_cvt_f32_u32_e32 v2, s2
	v_cvt_f32_u32_e32 v3, s3
	s_sub_u32 s17, 0, s2
	s_subb_u32 s21, 0, s3
	s_delay_alu instid0(VALU_DEP_1) | instskip(NEXT) | instid1(VALU_DEP_1)
	v_fmamk_f32 v2, v3, 0x4f800000, v2
	v_rcp_f32_e32 v2, v2
	s_waitcnt_depctr 0xfff
	v_mul_f32_e32 v2, 0x5f7ffffc, v2
	s_delay_alu instid0(VALU_DEP_1) | instskip(NEXT) | instid1(VALU_DEP_1)
	v_mul_f32_e32 v3, 0x2f800000, v2
	v_trunc_f32_e32 v3, v3
	s_delay_alu instid0(VALU_DEP_1) | instskip(SKIP_1) | instid1(VALU_DEP_2)
	v_fmamk_f32 v2, v3, 0xcf800000, v2
	v_cvt_u32_f32_e32 v3, v3
	v_cvt_u32_f32_e32 v2, v2
	s_delay_alu instid0(VALU_DEP_2) | instskip(NEXT) | instid1(VALU_DEP_2)
	v_readfirstlane_b32 s4, v3
	v_readfirstlane_b32 s14, v2
	s_delay_alu instid0(VALU_DEP_2) | instskip(NEXT) | instid1(VALU_DEP_1)
	s_mul_i32 s25, s17, s4
	s_mul_hi_u32 s29, s17, s14
	s_mul_i32 s28, s21, s14
	s_add_i32 s25, s29, s25
	s_mul_i32 s30, s17, s14
	s_add_i32 s25, s25, s28
	s_mul_hi_u32 s29, s14, s30
	s_mul_hi_u32 s31, s4, s30
	s_mul_i32 s28, s4, s30
	s_mul_hi_u32 s30, s14, s25
	s_mul_i32 s14, s14, s25
	s_mul_hi_u32 s33, s4, s25
	s_add_u32 s14, s29, s14
	s_addc_u32 s29, 0, s30
	s_add_u32 s14, s14, s28
	s_mul_i32 s25, s4, s25
	s_addc_u32 s14, s29, s31
	s_addc_u32 s28, s33, 0
	s_add_u32 s14, s14, s25
	s_addc_u32 s25, 0, s28
	v_add_co_u32 v2, s14, v2, s14
	s_delay_alu instid0(VALU_DEP_1) | instskip(SKIP_1) | instid1(VALU_DEP_1)
	s_cmp_lg_u32 s14, 0
	s_addc_u32 s4, s4, s25
	v_readfirstlane_b32 s14, v2
	s_mul_i32 s25, s17, s4
	s_delay_alu instid0(VALU_DEP_1)
	s_mul_hi_u32 s28, s17, s14
	s_mul_i32 s21, s21, s14
	s_add_i32 s25, s28, s25
	s_mul_i32 s17, s17, s14
	s_add_i32 s25, s25, s21
	s_mul_hi_u32 s28, s4, s17
	s_mul_i32 s29, s4, s17
	s_mul_hi_u32 s17, s14, s17
	s_mul_hi_u32 s30, s14, s25
	s_mul_i32 s14, s14, s25
	s_mul_hi_u32 s21, s4, s25
	s_add_u32 s14, s17, s14
	s_addc_u32 s17, 0, s30
	s_add_u32 s14, s14, s29
	s_mul_i32 s25, s4, s25
	s_addc_u32 s14, s17, s28
	s_addc_u32 s17, s21, 0
	s_add_u32 s14, s14, s25
	s_addc_u32 s17, 0, s17
	v_add_co_u32 v2, s14, v2, s14
	s_delay_alu instid0(VALU_DEP_1) | instskip(SKIP_2) | instid1(VALU_DEP_1)
	s_cmp_lg_u32 s14, 0
	s_addc_u32 s4, s4, s17
	s_ashr_i32 s28, s23, 31
	v_readfirstlane_b32 s14, v2
	s_add_u32 s30, s22, s28
	s_mov_b32 s29, s28
	s_addc_u32 s31, s23, s28
	s_delay_alu instid0(SALU_CYCLE_1) | instskip(NEXT) | instid1(SALU_CYCLE_1)
	s_xor_b64 s[30:31], s[30:31], s[28:29]
	s_mul_i32 s21, s30, s4
	s_mul_hi_u32 s23, s30, s14
	s_mul_hi_u32 s17, s30, s4
	;; [unrolled: 1-line block ×3, first 2 shown]
	s_mul_i32 s14, s31, s14
	s_add_u32 s21, s23, s21
	s_addc_u32 s17, 0, s17
	s_mul_hi_u32 s25, s31, s4
	s_add_u32 s14, s21, s14
	s_mul_i32 s4, s31, s4
	s_addc_u32 s14, s17, s33
	s_addc_u32 s17, s25, 0
	s_add_u32 s4, s14, s4
	s_addc_u32 s14, 0, s17
	s_mul_hi_u32 s17, s2, s4
	s_mul_i32 s14, s2, s14
	s_mul_i32 s23, s2, s4
	;; [unrolled: 1-line block ×3, first 2 shown]
	s_add_i32 s14, s17, s14
	v_sub_co_u32 v2, s17, s30, s23
	s_add_i32 s14, s14, s21
	s_delay_alu instid0(SALU_CYCLE_1) | instskip(SKIP_1) | instid1(VALU_DEP_1)
	s_sub_i32 s21, s31, s14
	s_cmp_lg_u32 s17, 0
	v_sub_co_u32 v3, s23, v2, s2
	s_subb_u32 s21, s21, s3
	s_cmp_lg_u32 s23, 0
	s_subb_u32 s21, s21, 0
	s_delay_alu instid0(VALU_DEP_1)
	v_cmp_le_u32_e32 vcc_lo, s2, v3
	s_cmp_ge_u32 s21, s3
	v_cmp_le_u32_e64 s2, s2, v2
	s_cselect_b32 s23, -1, 0
	s_cmp_eq_u32 s21, s3
	v_cndmask_b32_e64 v3, 0, -1, vcc_lo
	s_cselect_b32 vcc_lo, -1, 0
	s_add_u32 s21, s4, 1
	s_add_u32 s25, s4, 2
	s_cmp_lg_u32 s17, 0
	v_mov_b32_e32 v4, s25
	v_cndmask_b32_e64 v2, 0, -1, s2
	s_subb_u32 s2, s31, s14
	v_cndmask_b32_e32 v3, s23, v3, vcc_lo
	s_cmp_ge_u32 s2, s3
	s_cselect_b32 s14, -1, 0
	s_cmp_eq_u32 s2, s3
	s_cselect_b32 vcc_lo, -1, 0
	s_xor_b64 s[2:3], s[28:29], s[26:27]
	v_cndmask_b32_e32 v2, s14, v2, vcc_lo
	v_cmp_ne_u32_e32 vcc_lo, 0, v3
	v_cndmask_b32_e32 v3, s21, v4, vcc_lo
	s_delay_alu instid0(VALU_DEP_3) | instskip(NEXT) | instid1(VALU_DEP_2)
	v_cmp_ne_u32_e32 vcc_lo, 0, v2
	v_cndmask_b32_e32 v2, s4, v3, vcc_lo
	s_delay_alu instid0(VALU_DEP_1) | instskip(NEXT) | instid1(VALU_DEP_1)
	v_xor_b32_e32 v2, s2, v2
	v_sub_co_u32 v3, vcc_lo, v2, s2
	s_load_b32 s2, s[0:1], 0x3c
	s_and_not1_b32 vcc_lo, exec_lo, s24
	s_cbranch_vccnz .LBB11_9
.LBB11_8:
	v_rcp_iflag_f32_e32 v1, v1
	s_sub_i32 s3, 0, s10
	s_waitcnt_depctr 0xfff
	v_mul_f32_e32 v1, 0x4f7ffffe, v1
	s_delay_alu instid0(VALU_DEP_1) | instskip(NEXT) | instid1(VALU_DEP_1)
	v_cvt_u32_f32_e32 v1, v1
	v_mul_lo_u32 v2, s3, v1
	s_delay_alu instid0(VALU_DEP_1) | instskip(NEXT) | instid1(VALU_DEP_1)
	v_mul_hi_u32 v2, v1, v2
	v_add_nc_u32_e32 v1, v1, v2
	s_delay_alu instid0(VALU_DEP_1) | instskip(NEXT) | instid1(VALU_DEP_1)
	v_mul_hi_u32 v1, s22, v1
	v_mul_lo_u32 v2, v1, s10
	v_add_nc_u32_e32 v3, 1, v1
	s_delay_alu instid0(VALU_DEP_2) | instskip(NEXT) | instid1(VALU_DEP_1)
	v_sub_nc_u32_e32 v2, s22, v2
	v_subrev_nc_u32_e32 v4, s10, v2
	v_cmp_le_u32_e32 vcc_lo, s10, v2
	s_delay_alu instid0(VALU_DEP_2) | instskip(NEXT) | instid1(VALU_DEP_1)
	v_dual_cndmask_b32 v2, v2, v4 :: v_dual_cndmask_b32 v1, v1, v3
	v_cmp_le_u32_e32 vcc_lo, s10, v2
	s_delay_alu instid0(VALU_DEP_2) | instskip(NEXT) | instid1(VALU_DEP_1)
	v_add_nc_u32_e32 v3, 1, v1
	v_cndmask_b32_e32 v3, v1, v3, vcc_lo
.LBB11_9:
	v_bfe_u32 v4, v0, 10, 10
	s_waitcnt lgkmcnt(0)
	s_lshr_b32 s3, s2, 16
	s_mov_b32 s4, exec_lo
	s_delay_alu instid0(VALU_DEP_1) | instskip(NEXT) | instid1(VALU_DEP_1)
	v_mad_u64_u32 v[1:2], null, s15, s3, v[4:5]
	v_cmpx_gt_i32_e64 s5, v1
	s_cbranch_execz .LBB11_84
; %bb.10:
	s_clause 0x1
	s_load_b128 s[24:27], s[0:1], 0x0
	s_load_b32 s43, s[0:1], 0x34
	s_mul_i32 s4, s6, s5
	s_mul_hi_i32 s14, s6, s5
	s_mul_i32 s15, s4, s19
	s_mul_hi_u32 s19, s4, s18
	s_mul_i32 s21, s14, s18
	s_add_i32 s15, s19, s15
	s_mul_i32 s14, s4, s18
	s_add_i32 s15, s15, s21
	s_ashr_i32 s17, s5, 31
	s_lshl_b64 s[14:15], s[14:15], 1
	s_ashr_i32 s33, s6, 31
	s_mul_i32 s4, s20, s7
	s_mul_i32 s18, s9, s8
	s_mov_b32 s37, s5
	v_and_b32_e32 v30, 0x3ff, v0
	v_cvt_f32_u32_e32 v4, s37
	s_mov_b32 s40, s6
	s_mov_b32 s41, s8
	s_waitcnt lgkmcnt(0)
	s_add_u32 s7, s24, s14
	s_addc_u32 s36, s25, s15
	s_add_i32 s4, s4, s16
	v_rcp_iflag_f32_e32 v4, v4
	s_mul_i32 s14, s18, s4
	s_mov_b32 s42, s9
	s_ashr_i32 s15, s14, 31
	s_mul_i32 s43, s43, s3
	s_lshl_b64 s[14:15], s[14:15], 1
	s_mov_b32 s20, 0
	s_add_u32 s14, s26, s14
	s_addc_u32 s15, s27, s15
	s_ashr_i32 s38, s5, 31
	s_waitcnt_depctr 0xfff
	v_mul_f32_e32 v4, 0x4f7ffffe, v4
	s_add_i32 s4, s5, s38
	s_sub_i32 s1, 0, s5
	s_xor_b32 s39, s4, s38
	s_ashr_i32 s19, s18, 31
	v_cvt_f32_u32_e32 v2, s39
	v_cvt_u32_f32_e32 v4, v4
	s_sub_i32 s0, 0, s39
	s_and_b32 s44, s2, 0xffff
	s_ashr_i32 s45, s8, 31
	v_rcp_iflag_f32_e32 v2, v2
	v_mul_lo_u32 v6, s1, v4
	s_ashr_i32 s46, s9, 31
	s_lshl_b64 s[18:19], s[18:19], 1
	s_mov_b32 s47, 0
	s_waitcnt_depctr 0xfff
	v_dual_mul_f32 v2, 0x4f7ffffe, v2 :: v_dual_add_nc_u32 v29, 1, v3
	s_delay_alu instid0(VALU_DEP_1) | instskip(NEXT) | instid1(VALU_DEP_2)
	v_cmp_lt_i32_e64 s1, s16, v29
	v_cvt_u32_f32_e32 v5, v2
	s_delay_alu instid0(VALU_DEP_1) | instskip(SKIP_1) | instid1(VALU_DEP_2)
	v_mul_lo_u32 v3, s0, v5
	v_cmp_gt_i32_e64 s0, s6, v30
	v_mul_hi_u32 v0, v5, v3
	v_mul_hi_u32 v3, v4, v6
	s_delay_alu instid0(VALU_DEP_2) | instskip(NEXT) | instid1(VALU_DEP_2)
	v_dual_mov_b32 v2, 0 :: v_dual_add_nc_u32 v31, v5, v0
	v_add_nc_u32_e32 v32, v4, v3
	s_branch .LBB11_12
.LBB11_11:                              ;   in Loop: Header=BB11_12 Depth=1
	s_or_b32 exec_lo, exec_lo, s48
	v_add_nc_u32_e32 v1, s43, v1
	s_delay_alu instid0(VALU_DEP_1) | instskip(SKIP_1) | instid1(SALU_CYCLE_1)
	v_cmp_le_i32_e32 vcc_lo, s5, v1
	s_or_b32 s47, vcc_lo, s47
	s_and_not1_b32 exec_lo, exec_lo, s47
	s_cbranch_execz .LBB11_84
.LBB11_12:                              ; =>This Loop Header: Depth=1
                                        ;     Child Loop BB11_27 Depth 2
                                        ;       Child Loop BB11_42 Depth 3
                                        ;         Child Loop BB11_54 Depth 4
                                        ;           Child Loop BB11_69 Depth 5
	v_ashrrev_i32_e32 v0, 31, v1
	s_mov_b32 s2, exec_lo
                                        ; implicit-def: $vgpr7_vgpr8
	s_delay_alu instid0(VALU_DEP_1) | instskip(NEXT) | instid1(VALU_DEP_1)
	v_or_b32_e32 v3, s17, v0
	v_cmpx_ne_u64_e32 0, v[2:3]
	s_xor_b32 s2, exec_lo, s2
	s_cbranch_execz .LBB11_14
; %bb.13:                               ;   in Loop: Header=BB11_12 Depth=1
	v_ashrrev_i32_e32 v3, 31, v1
	s_delay_alu instid0(VALU_DEP_1) | instskip(NEXT) | instid1(VALU_DEP_1)
	v_add_nc_u32_e32 v4, v1, v3
	v_xor_b32_e32 v4, v4, v3
	v_xor_b32_e32 v3, s38, v3
	s_delay_alu instid0(VALU_DEP_2) | instskip(NEXT) | instid1(VALU_DEP_1)
	v_mul_hi_u32 v5, v4, v31
	v_mul_lo_u32 v6, v5, s39
	s_delay_alu instid0(VALU_DEP_1) | instskip(SKIP_1) | instid1(VALU_DEP_2)
	v_sub_nc_u32_e32 v4, v4, v6
	v_add_nc_u32_e32 v6, 1, v5
	v_subrev_nc_u32_e32 v7, s39, v4
	v_cmp_le_u32_e32 vcc_lo, s39, v4
	s_delay_alu instid0(VALU_DEP_2) | instskip(NEXT) | instid1(VALU_DEP_1)
	v_dual_cndmask_b32 v4, v4, v7 :: v_dual_cndmask_b32 v5, v5, v6
	v_cmp_le_u32_e32 vcc_lo, s39, v4
	s_delay_alu instid0(VALU_DEP_2) | instskip(NEXT) | instid1(VALU_DEP_1)
	v_add_nc_u32_e32 v6, 1, v5
	v_cndmask_b32_e32 v4, v5, v6, vcc_lo
	s_delay_alu instid0(VALU_DEP_1) | instskip(NEXT) | instid1(VALU_DEP_1)
	v_xor_b32_e32 v4, v4, v3
	v_sub_nc_u32_e32 v7, v4, v3
	s_delay_alu instid0(VALU_DEP_1)
	v_ashrrev_i32_e32 v8, 31, v7
.LBB11_14:                              ;   in Loop: Header=BB11_12 Depth=1
	s_and_not1_saveexec_b32 s2, s2
; %bb.15:                               ;   in Loop: Header=BB11_12 Depth=1
	v_mul_hi_u32 v3, v1, v32
	v_mov_b32_e32 v8, v2
	s_delay_alu instid0(VALU_DEP_2) | instskip(NEXT) | instid1(VALU_DEP_1)
	v_mul_lo_u32 v4, v3, s37
	v_sub_nc_u32_e32 v4, v1, v4
	s_delay_alu instid0(VALU_DEP_1) | instskip(SKIP_1) | instid1(VALU_DEP_2)
	v_subrev_nc_u32_e32 v6, s37, v4
	v_cmp_le_u32_e32 vcc_lo, s37, v4
	v_dual_cndmask_b32 v4, v4, v6 :: v_dual_add_nc_u32 v5, 1, v3
	s_delay_alu instid0(VALU_DEP_1) | instskip(NEXT) | instid1(VALU_DEP_2)
	v_cndmask_b32_e32 v3, v3, v5, vcc_lo
	v_cmp_le_u32_e32 vcc_lo, s37, v4
	s_delay_alu instid0(VALU_DEP_2) | instskip(NEXT) | instid1(VALU_DEP_1)
	v_add_nc_u32_e32 v5, 1, v3
	v_cndmask_b32_e32 v7, v3, v5, vcc_lo
; %bb.16:                               ;   in Loop: Header=BB11_12 Depth=1
	s_or_b32 exec_lo, exec_lo, s2
	v_mul_lo_u32 v5, v8, s37
	s_delay_alu instid0(VALU_DEP_2) | instskip(SKIP_2) | instid1(VALU_DEP_1)
	v_mul_lo_u32 v6, v7, s17
	v_mad_u64_u32 v[3:4], null, v7, s37, 0
	s_mov_b32 s2, exec_lo
	v_add3_u32 v4, v4, v6, v5
	s_delay_alu instid0(VALU_DEP_2) | instskip(NEXT) | instid1(VALU_DEP_2)
	v_sub_co_u32 v3, vcc_lo, v1, v3
	v_sub_co_ci_u32_e32 v4, vcc_lo, v0, v4, vcc_lo
	s_delay_alu instid0(VALU_DEP_2) | instskip(NEXT) | instid1(VALU_DEP_2)
	v_mul_lo_u32 v6, v3, s45
	v_mul_lo_u32 v8, v4, s41
	v_mad_u64_u32 v[4:5], null, v3, s41, 0
	s_delay_alu instid0(VALU_DEP_1) | instskip(NEXT) | instid1(VALU_DEP_1)
	v_add3_u32 v5, v5, v6, v8
                                        ; implicit-def: $vgpr8_vgpr9
	v_or_b32_e32 v3, s17, v5
	s_delay_alu instid0(VALU_DEP_1)
	v_cmpx_ne_u64_e32 0, v[2:3]
	s_xor_b32 s3, exec_lo, s2
	s_cbranch_execz .LBB11_18
; %bb.17:                               ;   in Loop: Header=BB11_12 Depth=1
	s_add_u32 s24, s37, s17
	s_mov_b32 s22, s17
	s_mov_b32 s23, s17
	s_addc_u32 s25, s17, s17
	s_delay_alu instid0(SALU_CYCLE_1) | instskip(NEXT) | instid1(SALU_CYCLE_1)
	s_xor_b64 s[24:25], s[24:25], s[22:23]
	v_cvt_f32_u32_e32 v3, s24
	v_cvt_f32_u32_e32 v6, s25
	s_sub_u32 s2, 0, s24
	s_subb_u32 s4, 0, s25
	s_delay_alu instid0(VALU_DEP_1) | instskip(NEXT) | instid1(VALU_DEP_1)
	v_fmac_f32_e32 v3, 0x4f800000, v6
	v_rcp_f32_e32 v3, v3
	s_waitcnt_depctr 0xfff
	v_mul_f32_e32 v3, 0x5f7ffffc, v3
	s_delay_alu instid0(VALU_DEP_1) | instskip(NEXT) | instid1(VALU_DEP_1)
	v_mul_f32_e32 v6, 0x2f800000, v3
	v_trunc_f32_e32 v6, v6
	s_delay_alu instid0(VALU_DEP_1) | instskip(SKIP_1) | instid1(VALU_DEP_2)
	v_fmac_f32_e32 v3, 0xcf800000, v6
	v_cvt_u32_f32_e32 v6, v6
	v_cvt_u32_f32_e32 v3, v3
	s_delay_alu instid0(VALU_DEP_2) | instskip(NEXT) | instid1(VALU_DEP_2)
	v_mul_lo_u32 v8, s2, v6
	v_mul_hi_u32 v9, s2, v3
	v_mul_lo_u32 v10, s4, v3
	s_delay_alu instid0(VALU_DEP_2) | instskip(SKIP_1) | instid1(VALU_DEP_2)
	v_add_nc_u32_e32 v8, v9, v8
	v_mul_lo_u32 v9, s2, v3
	v_add_nc_u32_e32 v8, v8, v10
	s_delay_alu instid0(VALU_DEP_2) | instskip(NEXT) | instid1(VALU_DEP_2)
	v_mul_hi_u32 v10, v3, v9
	v_mul_lo_u32 v11, v3, v8
	v_mul_hi_u32 v12, v3, v8
	v_mul_hi_u32 v13, v6, v9
	v_mul_lo_u32 v9, v6, v9
	v_mul_hi_u32 v14, v6, v8
	v_mul_lo_u32 v8, v6, v8
	v_add_co_u32 v10, vcc_lo, v10, v11
	v_add_co_ci_u32_e32 v11, vcc_lo, 0, v12, vcc_lo
	s_delay_alu instid0(VALU_DEP_2) | instskip(NEXT) | instid1(VALU_DEP_2)
	v_add_co_u32 v9, vcc_lo, v10, v9
	v_add_co_ci_u32_e32 v9, vcc_lo, v11, v13, vcc_lo
	v_add_co_ci_u32_e32 v10, vcc_lo, 0, v14, vcc_lo
	v_ashrrev_i32_e32 v13, 31, v5
	s_delay_alu instid0(VALU_DEP_3) | instskip(NEXT) | instid1(VALU_DEP_3)
	v_add_co_u32 v8, vcc_lo, v9, v8
	v_add_co_ci_u32_e32 v9, vcc_lo, 0, v10, vcc_lo
	s_delay_alu instid0(VALU_DEP_2) | instskip(NEXT) | instid1(VALU_DEP_2)
	v_add_co_u32 v3, vcc_lo, v3, v8
	v_add_co_ci_u32_e32 v6, vcc_lo, v6, v9, vcc_lo
	s_delay_alu instid0(VALU_DEP_2) | instskip(SKIP_1) | instid1(VALU_DEP_3)
	v_mul_hi_u32 v8, s2, v3
	v_mul_lo_u32 v10, s4, v3
	v_mul_lo_u32 v9, s2, v6
	s_delay_alu instid0(VALU_DEP_1) | instskip(SKIP_1) | instid1(VALU_DEP_2)
	v_add_nc_u32_e32 v8, v8, v9
	v_mul_lo_u32 v9, s2, v3
	v_add_nc_u32_e32 v8, v8, v10
	s_delay_alu instid0(VALU_DEP_2) | instskip(NEXT) | instid1(VALU_DEP_2)
	v_mul_hi_u32 v10, v3, v9
	v_mul_lo_u32 v11, v3, v8
	v_mul_hi_u32 v12, v3, v8
	v_mul_hi_u32 v14, v6, v9
	v_mul_lo_u32 v9, v6, v9
	v_mul_hi_u32 v15, v6, v8
	v_mul_lo_u32 v8, v6, v8
	v_add_co_u32 v10, vcc_lo, v10, v11
	v_add_co_ci_u32_e32 v11, vcc_lo, 0, v12, vcc_lo
	s_delay_alu instid0(VALU_DEP_2) | instskip(NEXT) | instid1(VALU_DEP_2)
	v_add_co_u32 v9, vcc_lo, v10, v9
	v_add_co_ci_u32_e32 v9, vcc_lo, v11, v14, vcc_lo
	v_add_co_ci_u32_e32 v10, vcc_lo, 0, v15, vcc_lo
	v_add_co_u32 v4, vcc_lo, v4, v13
	v_add_co_ci_u32_e32 v5, vcc_lo, v5, v13, vcc_lo
	s_delay_alu instid0(VALU_DEP_4) | instskip(NEXT) | instid1(VALU_DEP_4)
	v_add_co_u32 v8, vcc_lo, v9, v8
	v_add_co_ci_u32_e32 v9, vcc_lo, 0, v10, vcc_lo
	s_delay_alu instid0(VALU_DEP_4) | instskip(NEXT) | instid1(VALU_DEP_3)
	v_xor_b32_e32 v10, v4, v13
	v_add_co_u32 v8, vcc_lo, v3, v8
	s_delay_alu instid0(VALU_DEP_3) | instskip(SKIP_1) | instid1(VALU_DEP_3)
	v_add_co_ci_u32_e32 v11, vcc_lo, v6, v9, vcc_lo
	v_xor_b32_e32 v12, v5, v13
	v_mul_hi_u32 v14, v10, v8
	s_delay_alu instid0(VALU_DEP_3) | instskip(NEXT) | instid1(VALU_DEP_3)
	v_mad_u64_u32 v[3:4], null, v10, v11, 0
	v_mad_u64_u32 v[5:6], null, v12, v8, 0
	;; [unrolled: 1-line block ×3, first 2 shown]
	s_delay_alu instid0(VALU_DEP_3) | instskip(NEXT) | instid1(VALU_DEP_4)
	v_add_co_u32 v3, vcc_lo, v14, v3
	v_add_co_ci_u32_e32 v4, vcc_lo, 0, v4, vcc_lo
	s_delay_alu instid0(VALU_DEP_2) | instskip(NEXT) | instid1(VALU_DEP_2)
	v_add_co_u32 v3, vcc_lo, v3, v5
	v_add_co_ci_u32_e32 v3, vcc_lo, v4, v6, vcc_lo
	v_add_co_ci_u32_e32 v4, vcc_lo, 0, v9, vcc_lo
	s_delay_alu instid0(VALU_DEP_2) | instskip(NEXT) | instid1(VALU_DEP_2)
	v_add_co_u32 v5, vcc_lo, v3, v8
	v_add_co_ci_u32_e32 v6, vcc_lo, 0, v4, vcc_lo
	s_delay_alu instid0(VALU_DEP_2) | instskip(SKIP_1) | instid1(VALU_DEP_3)
	v_mul_lo_u32 v8, s25, v5
	v_mad_u64_u32 v[3:4], null, s24, v5, 0
	v_mul_lo_u32 v6, s24, v6
	s_delay_alu instid0(VALU_DEP_2) | instskip(NEXT) | instid1(VALU_DEP_2)
	v_sub_co_u32 v3, vcc_lo, v10, v3
	v_add3_u32 v4, v4, v6, v8
	v_add_co_u32 v8, s2, v5, 2
	s_delay_alu instid0(VALU_DEP_2) | instskip(NEXT) | instid1(VALU_DEP_1)
	v_sub_nc_u32_e32 v6, v12, v4
	v_subrev_co_ci_u32_e64 v6, s2, s25, v6, vcc_lo
	v_sub_co_u32 v9, s2, v3, s24
	v_sub_co_ci_u32_e32 v4, vcc_lo, v12, v4, vcc_lo
	s_delay_alu instid0(VALU_DEP_3) | instskip(NEXT) | instid1(VALU_DEP_3)
	v_subrev_co_ci_u32_e64 v6, s2, 0, v6, s2
	v_cmp_le_u32_e32 vcc_lo, s24, v9
	v_cndmask_b32_e64 v9, 0, -1, vcc_lo
	s_delay_alu instid0(VALU_DEP_3)
	v_cmp_le_u32_e32 vcc_lo, s25, v6
	v_cndmask_b32_e64 v10, 0, -1, vcc_lo
	v_cmp_le_u32_e32 vcc_lo, s24, v3
	v_cndmask_b32_e64 v3, 0, -1, vcc_lo
	;; [unrolled: 2-line block ×3, first 2 shown]
	v_cmp_eq_u32_e32 vcc_lo, s25, v6
	v_cndmask_b32_e32 v6, v10, v9, vcc_lo
	v_add_co_u32 v9, vcc_lo, v5, 1
	v_cmp_eq_u32_e32 vcc_lo, s25, v4
	v_cndmask_b32_e32 v3, v11, v3, vcc_lo
	s_delay_alu instid0(VALU_DEP_4) | instskip(NEXT) | instid1(VALU_DEP_4)
	v_cmp_ne_u32_e32 vcc_lo, 0, v6
	v_cndmask_b32_e32 v4, v9, v8, vcc_lo
	s_delay_alu instid0(VALU_DEP_3) | instskip(NEXT) | instid1(VALU_DEP_2)
	v_cmp_ne_u32_e32 vcc_lo, 0, v3
	v_cndmask_b32_e32 v3, v5, v4, vcc_lo
	v_xor_b32_e32 v4, s22, v13
	s_delay_alu instid0(VALU_DEP_1) | instskip(NEXT) | instid1(VALU_DEP_1)
	v_xor_b32_e32 v3, v3, v4
	v_sub_co_u32 v8, vcc_lo, v3, v4
                                        ; implicit-def: $vgpr4_vgpr5
.LBB11_18:                              ;   in Loop: Header=BB11_12 Depth=1
	s_and_not1_saveexec_b32 s2, s3
; %bb.19:                               ;   in Loop: Header=BB11_12 Depth=1
	s_delay_alu instid0(VALU_DEP_4) | instskip(NEXT) | instid1(VALU_DEP_1)
	v_mul_hi_u32 v3, v4, v32
	v_mul_lo_u32 v5, v3, s37
	s_delay_alu instid0(VALU_DEP_1) | instskip(NEXT) | instid1(VALU_DEP_1)
	v_sub_nc_u32_e32 v4, v4, v5
	v_subrev_nc_u32_e32 v6, s37, v4
	v_cmp_le_u32_e32 vcc_lo, s37, v4
	s_delay_alu instid0(VALU_DEP_2) | instskip(NEXT) | instid1(VALU_DEP_1)
	v_dual_cndmask_b32 v4, v4, v6 :: v_dual_add_nc_u32 v5, 1, v3
	v_cndmask_b32_e32 v3, v3, v5, vcc_lo
	s_delay_alu instid0(VALU_DEP_2) | instskip(NEXT) | instid1(VALU_DEP_2)
	v_cmp_le_u32_e32 vcc_lo, s37, v4
	v_add_nc_u32_e32 v5, 1, v3
	s_delay_alu instid0(VALU_DEP_1)
	v_cndmask_b32_e32 v8, v3, v5, vcc_lo
; %bb.20:                               ;   in Loop: Header=BB11_12 Depth=1
	s_or_b32 exec_lo, exec_lo, s2
	v_add_co_u32 v3, vcc_lo, v1, 1
	v_add_co_ci_u32_e32 v0, vcc_lo, 0, v0, vcc_lo
                                        ; implicit-def: $vgpr9_vgpr10
	s_mov_b32 s2, exec_lo
	s_delay_alu instid0(VALU_DEP_2) | instskip(SKIP_1) | instid1(VALU_DEP_3)
	v_mul_lo_u32 v6, v3, s45
	v_mad_u64_u32 v[4:5], null, v3, s41, -1
	v_mul_lo_u32 v0, v0, s41
	s_delay_alu instid0(VALU_DEP_1) | instskip(NEXT) | instid1(VALU_DEP_1)
	v_add3_u32 v5, v0, v5, v6
	v_or_b32_e32 v3, s17, v5
	s_delay_alu instid0(VALU_DEP_1)
	v_cmpx_ne_u64_e32 0, v[2:3]
	s_xor_b32 s3, exec_lo, s2
	s_cbranch_execnz .LBB11_23
; %bb.21:                               ;   in Loop: Header=BB11_12 Depth=1
	s_and_not1_saveexec_b32 s2, s3
	s_cbranch_execnz .LBB11_24
.LBB11_22:                              ;   in Loop: Header=BB11_12 Depth=1
	s_or_b32 exec_lo, exec_lo, s2
	s_and_saveexec_b32 s48, s0
	s_cbranch_execz .LBB11_11
	s_branch .LBB11_25
.LBB11_23:                              ;   in Loop: Header=BB11_12 Depth=1
	s_add_u32 s24, s37, s17
	s_mov_b32 s22, s17
	s_mov_b32 s23, s17
	s_addc_u32 s25, s17, s17
	s_delay_alu instid0(SALU_CYCLE_1) | instskip(NEXT) | instid1(SALU_CYCLE_1)
	s_xor_b64 s[24:25], s[24:25], s[22:23]
	v_cvt_f32_u32_e32 v0, s24
	v_cvt_f32_u32_e32 v3, s25
	s_sub_u32 s2, 0, s24
	s_subb_u32 s4, 0, s25
	s_delay_alu instid0(VALU_DEP_1) | instskip(NEXT) | instid1(VALU_DEP_1)
	v_fmac_f32_e32 v0, 0x4f800000, v3
	v_rcp_f32_e32 v0, v0
	s_waitcnt_depctr 0xfff
	v_mul_f32_e32 v0, 0x5f7ffffc, v0
	s_delay_alu instid0(VALU_DEP_1) | instskip(NEXT) | instid1(VALU_DEP_1)
	v_mul_f32_e32 v3, 0x2f800000, v0
	v_trunc_f32_e32 v3, v3
	s_delay_alu instid0(VALU_DEP_1) | instskip(SKIP_1) | instid1(VALU_DEP_2)
	v_fmac_f32_e32 v0, 0xcf800000, v3
	v_cvt_u32_f32_e32 v3, v3
	v_cvt_u32_f32_e32 v0, v0
	s_delay_alu instid0(VALU_DEP_2) | instskip(NEXT) | instid1(VALU_DEP_2)
	v_mul_lo_u32 v6, s2, v3
	v_mul_hi_u32 v9, s2, v0
	v_mul_lo_u32 v10, s4, v0
	s_delay_alu instid0(VALU_DEP_2) | instskip(SKIP_1) | instid1(VALU_DEP_2)
	v_add_nc_u32_e32 v6, v9, v6
	v_mul_lo_u32 v9, s2, v0
	v_add_nc_u32_e32 v6, v6, v10
	s_delay_alu instid0(VALU_DEP_2) | instskip(NEXT) | instid1(VALU_DEP_2)
	v_mul_hi_u32 v10, v0, v9
	v_mul_lo_u32 v11, v0, v6
	v_mul_hi_u32 v12, v0, v6
	v_mul_hi_u32 v13, v3, v9
	v_mul_lo_u32 v9, v3, v9
	v_mul_hi_u32 v14, v3, v6
	v_mul_lo_u32 v6, v3, v6
	v_add_co_u32 v10, vcc_lo, v10, v11
	v_add_co_ci_u32_e32 v11, vcc_lo, 0, v12, vcc_lo
	s_delay_alu instid0(VALU_DEP_2) | instskip(NEXT) | instid1(VALU_DEP_2)
	v_add_co_u32 v9, vcc_lo, v10, v9
	v_add_co_ci_u32_e32 v9, vcc_lo, v11, v13, vcc_lo
	v_add_co_ci_u32_e32 v10, vcc_lo, 0, v14, vcc_lo
	v_ashrrev_i32_e32 v13, 31, v5
	s_delay_alu instid0(VALU_DEP_3) | instskip(NEXT) | instid1(VALU_DEP_3)
	v_add_co_u32 v6, vcc_lo, v9, v6
	v_add_co_ci_u32_e32 v9, vcc_lo, 0, v10, vcc_lo
	s_delay_alu instid0(VALU_DEP_2) | instskip(NEXT) | instid1(VALU_DEP_2)
	v_add_co_u32 v0, vcc_lo, v0, v6
	v_add_co_ci_u32_e32 v3, vcc_lo, v3, v9, vcc_lo
	s_delay_alu instid0(VALU_DEP_2) | instskip(SKIP_1) | instid1(VALU_DEP_3)
	v_mul_hi_u32 v6, s2, v0
	v_mul_lo_u32 v10, s4, v0
	v_mul_lo_u32 v9, s2, v3
	s_delay_alu instid0(VALU_DEP_1) | instskip(SKIP_1) | instid1(VALU_DEP_2)
	v_add_nc_u32_e32 v6, v6, v9
	v_mul_lo_u32 v9, s2, v0
	v_add_nc_u32_e32 v6, v6, v10
	s_delay_alu instid0(VALU_DEP_2) | instskip(NEXT) | instid1(VALU_DEP_2)
	v_mul_hi_u32 v10, v0, v9
	v_mul_lo_u32 v11, v0, v6
	v_mul_hi_u32 v12, v0, v6
	v_mul_hi_u32 v14, v3, v9
	v_mul_lo_u32 v9, v3, v9
	v_mul_hi_u32 v15, v3, v6
	v_mul_lo_u32 v6, v3, v6
	v_add_co_u32 v10, vcc_lo, v10, v11
	v_add_co_ci_u32_e32 v11, vcc_lo, 0, v12, vcc_lo
	s_delay_alu instid0(VALU_DEP_2) | instskip(NEXT) | instid1(VALU_DEP_2)
	v_add_co_u32 v9, vcc_lo, v10, v9
	v_add_co_ci_u32_e32 v9, vcc_lo, v11, v14, vcc_lo
	v_add_co_ci_u32_e32 v10, vcc_lo, 0, v15, vcc_lo
	v_add_co_u32 v4, vcc_lo, v4, v13
	v_add_co_ci_u32_e32 v5, vcc_lo, v5, v13, vcc_lo
	s_delay_alu instid0(VALU_DEP_4) | instskip(NEXT) | instid1(VALU_DEP_4)
	v_add_co_u32 v6, vcc_lo, v9, v6
	v_add_co_ci_u32_e32 v9, vcc_lo, 0, v10, vcc_lo
	s_delay_alu instid0(VALU_DEP_4) | instskip(NEXT) | instid1(VALU_DEP_3)
	v_xor_b32_e32 v11, v4, v13
	v_add_co_u32 v0, vcc_lo, v0, v6
	s_delay_alu instid0(VALU_DEP_3) | instskip(SKIP_1) | instid1(VALU_DEP_3)
	v_add_co_ci_u32_e32 v12, vcc_lo, v3, v9, vcc_lo
	v_xor_b32_e32 v14, v5, v13
	v_mul_hi_u32 v15, v11, v0
	s_delay_alu instid0(VALU_DEP_3) | instskip(NEXT) | instid1(VALU_DEP_3)
	v_mad_u64_u32 v[3:4], null, v11, v12, 0
	v_mad_u64_u32 v[5:6], null, v14, v0, 0
	;; [unrolled: 1-line block ×3, first 2 shown]
	s_delay_alu instid0(VALU_DEP_3) | instskip(NEXT) | instid1(VALU_DEP_4)
	v_add_co_u32 v0, vcc_lo, v15, v3
	v_add_co_ci_u32_e32 v3, vcc_lo, 0, v4, vcc_lo
	s_delay_alu instid0(VALU_DEP_2) | instskip(NEXT) | instid1(VALU_DEP_2)
	v_add_co_u32 v0, vcc_lo, v0, v5
	v_add_co_ci_u32_e32 v0, vcc_lo, v3, v6, vcc_lo
	v_add_co_ci_u32_e32 v3, vcc_lo, 0, v10, vcc_lo
	s_delay_alu instid0(VALU_DEP_2) | instskip(NEXT) | instid1(VALU_DEP_2)
	v_add_co_u32 v0, vcc_lo, v0, v9
	v_add_co_ci_u32_e32 v5, vcc_lo, 0, v3, vcc_lo
	s_delay_alu instid0(VALU_DEP_2) | instskip(SKIP_1) | instid1(VALU_DEP_3)
	v_mul_lo_u32 v6, s25, v0
	v_mad_u64_u32 v[3:4], null, s24, v0, 0
	v_mul_lo_u32 v5, s24, v5
	s_delay_alu instid0(VALU_DEP_2) | instskip(NEXT) | instid1(VALU_DEP_2)
	v_sub_co_u32 v3, vcc_lo, v11, v3
	v_add3_u32 v4, v4, v5, v6
	v_add_co_u32 v6, s2, v0, 2
	s_delay_alu instid0(VALU_DEP_2) | instskip(NEXT) | instid1(VALU_DEP_1)
	v_sub_nc_u32_e32 v5, v14, v4
	v_subrev_co_ci_u32_e64 v5, s2, s25, v5, vcc_lo
	v_sub_co_u32 v9, s2, v3, s24
	v_sub_co_ci_u32_e32 v4, vcc_lo, v14, v4, vcc_lo
	s_delay_alu instid0(VALU_DEP_3) | instskip(NEXT) | instid1(VALU_DEP_3)
	v_subrev_co_ci_u32_e64 v5, s2, 0, v5, s2
	v_cmp_le_u32_e32 vcc_lo, s24, v9
	v_cndmask_b32_e64 v9, 0, -1, vcc_lo
	s_delay_alu instid0(VALU_DEP_3)
	v_cmp_le_u32_e32 vcc_lo, s25, v5
	v_cndmask_b32_e64 v10, 0, -1, vcc_lo
	v_cmp_le_u32_e32 vcc_lo, s24, v3
	v_cndmask_b32_e64 v3, 0, -1, vcc_lo
	;; [unrolled: 2-line block ×3, first 2 shown]
	v_cmp_eq_u32_e32 vcc_lo, s25, v5
	v_cndmask_b32_e32 v5, v10, v9, vcc_lo
	v_add_co_u32 v9, vcc_lo, v0, 1
	v_cmp_eq_u32_e32 vcc_lo, s25, v4
	v_cndmask_b32_e32 v3, v11, v3, vcc_lo
	s_delay_alu instid0(VALU_DEP_4) | instskip(NEXT) | instid1(VALU_DEP_4)
	v_cmp_ne_u32_e32 vcc_lo, 0, v5
	v_cndmask_b32_e32 v4, v9, v6, vcc_lo
	s_delay_alu instid0(VALU_DEP_3) | instskip(SKIP_1) | instid1(VALU_DEP_3)
	v_cmp_ne_u32_e32 vcc_lo, 0, v3
	v_xor_b32_e32 v3, s22, v13
	v_cndmask_b32_e32 v0, v0, v4, vcc_lo
                                        ; implicit-def: $vgpr4_vgpr5
	s_delay_alu instid0(VALU_DEP_1) | instskip(NEXT) | instid1(VALU_DEP_1)
	v_xor_b32_e32 v0, v0, v3
	v_sub_co_u32 v9, vcc_lo, v0, v3
	s_and_not1_saveexec_b32 s2, s3
	s_cbranch_execz .LBB11_22
.LBB11_24:                              ;   in Loop: Header=BB11_12 Depth=1
	v_mul_hi_u32 v0, v4, v32
	s_delay_alu instid0(VALU_DEP_1) | instskip(NEXT) | instid1(VALU_DEP_1)
	v_mul_lo_u32 v3, v0, s37
	v_sub_nc_u32_e32 v3, v4, v3
	s_delay_alu instid0(VALU_DEP_1) | instskip(SKIP_1) | instid1(VALU_DEP_2)
	v_subrev_nc_u32_e32 v5, s37, v3
	v_cmp_le_u32_e32 vcc_lo, s37, v3
	v_dual_cndmask_b32 v3, v3, v5 :: v_dual_add_nc_u32 v4, 1, v0
	s_delay_alu instid0(VALU_DEP_1) | instskip(NEXT) | instid1(VALU_DEP_2)
	v_cndmask_b32_e32 v0, v0, v4, vcc_lo
	v_cmp_le_u32_e32 vcc_lo, s37, v3
	s_delay_alu instid0(VALU_DEP_2) | instskip(NEXT) | instid1(VALU_DEP_1)
	v_add_nc_u32_e32 v4, 1, v0
	v_cndmask_b32_e32 v9, v0, v4, vcc_lo
	s_or_b32 exec_lo, exec_lo, s2
	s_and_saveexec_b32 s48, s0
	s_cbranch_execz .LBB11_11
.LBB11_25:                              ;   in Loop: Header=BB11_12 Depth=1
	v_mul_lo_u32 v10, v1, s6
	v_mad_u64_u32 v[4:5], null, v7, s41, v[8:9]
	v_add_nc_u32_e32 v33, 1, v9
	s_mov_b32 s49, 0
	s_delay_alu instid0(VALU_DEP_3) | instskip(NEXT) | instid1(VALU_DEP_1)
	v_ashrrev_i32_e32 v11, 31, v10
	v_lshlrev_b64 v[9:10], 1, v[10:11]
	s_delay_alu instid0(VALU_DEP_1)
	v_mad_u64_u32 v[5:6], null, s8, v7, v[8:9]
	v_mov_b32_e32 v6, v30
	v_add_co_u32 v34, vcc_lo, s7, v9
	v_cmp_gt_i32_e64 s2, v33, v4
	v_add_co_ci_u32_e32 v35, vcc_lo, s36, v10, vcc_lo
	s_branch .LBB11_27
.LBB11_26:                              ;   in Loop: Header=BB11_27 Depth=2
	v_add_nc_u32_e32 v6, s44, v6
	s_delay_alu instid0(VALU_DEP_1) | instskip(SKIP_1) | instid1(SALU_CYCLE_1)
	v_cmp_le_i32_e32 vcc_lo, s6, v6
	s_or_b32 s49, vcc_lo, s49
	s_and_not1_b32 exec_lo, exec_lo, s49
	s_cbranch_execz .LBB11_11
.LBB11_27:                              ;   Parent Loop BB11_12 Depth=1
                                        ; =>  This Loop Header: Depth=2
                                        ;       Child Loop BB11_42 Depth 3
                                        ;         Child Loop BB11_54 Depth 4
                                        ;           Child Loop BB11_69 Depth 5
	v_or_b32_e64 v3, 0, s33
	v_mov_b32_e32 v7, v2
                                        ; implicit-def: $vgpr10_vgpr11
	s_mov_b32 s3, exec_lo
	s_delay_alu instid0(VALU_DEP_2)
	v_cmpx_ne_u64_e32 0, v[2:3]
	s_xor_b32 s4, exec_lo, s3
	s_cbranch_execz .LBB11_29
; %bb.28:                               ;   in Loop: Header=BB11_27 Depth=2
	s_add_u32 s24, s40, s33
	s_mov_b32 s22, s33
	s_mov_b32 s23, s33
	s_addc_u32 s25, s33, s33
	s_delay_alu instid0(SALU_CYCLE_1) | instskip(NEXT) | instid1(SALU_CYCLE_1)
	s_xor_b64 s[24:25], s[24:25], s[22:23]
	v_cvt_f32_u32_e32 v0, s24
	v_cvt_f32_u32_e32 v3, s25
	s_sub_u32 s3, 0, s24
	s_subb_u32 s21, 0, s25
	s_delay_alu instid0(VALU_DEP_1) | instskip(NEXT) | instid1(VALU_DEP_1)
	v_fmac_f32_e32 v0, 0x4f800000, v3
	v_rcp_f32_e32 v0, v0
	s_waitcnt_depctr 0xfff
	v_mul_f32_e32 v0, 0x5f7ffffc, v0
	s_delay_alu instid0(VALU_DEP_1) | instskip(NEXT) | instid1(VALU_DEP_1)
	v_mul_f32_e32 v3, 0x2f800000, v0
	v_trunc_f32_e32 v3, v3
	s_delay_alu instid0(VALU_DEP_1) | instskip(SKIP_1) | instid1(VALU_DEP_2)
	v_fmac_f32_e32 v0, 0xcf800000, v3
	v_cvt_u32_f32_e32 v3, v3
	v_cvt_u32_f32_e32 v0, v0
	s_delay_alu instid0(VALU_DEP_2) | instskip(NEXT) | instid1(VALU_DEP_2)
	v_mul_lo_u32 v8, s3, v3
	v_mul_hi_u32 v9, s3, v0
	v_mul_lo_u32 v10, s21, v0
	s_delay_alu instid0(VALU_DEP_2) | instskip(SKIP_1) | instid1(VALU_DEP_2)
	v_add_nc_u32_e32 v8, v9, v8
	v_mul_lo_u32 v9, s3, v0
	v_add_nc_u32_e32 v8, v8, v10
	s_delay_alu instid0(VALU_DEP_2) | instskip(NEXT) | instid1(VALU_DEP_2)
	v_mul_hi_u32 v10, v0, v9
	v_mul_lo_u32 v11, v0, v8
	v_mul_hi_u32 v12, v0, v8
	v_mul_hi_u32 v13, v3, v9
	v_mul_lo_u32 v9, v3, v9
	v_mul_hi_u32 v14, v3, v8
	v_mul_lo_u32 v8, v3, v8
	v_add_co_u32 v10, vcc_lo, v10, v11
	v_add_co_ci_u32_e32 v11, vcc_lo, 0, v12, vcc_lo
	s_delay_alu instid0(VALU_DEP_2) | instskip(NEXT) | instid1(VALU_DEP_2)
	v_add_co_u32 v9, vcc_lo, v10, v9
	v_add_co_ci_u32_e32 v9, vcc_lo, v11, v13, vcc_lo
	v_add_co_ci_u32_e32 v10, vcc_lo, 0, v14, vcc_lo
	v_ashrrev_i32_e64 v14, 31, 0
	s_delay_alu instid0(VALU_DEP_3) | instskip(NEXT) | instid1(VALU_DEP_3)
	v_add_co_u32 v8, vcc_lo, v9, v8
	v_add_co_ci_u32_e32 v9, vcc_lo, 0, v10, vcc_lo
	s_delay_alu instid0(VALU_DEP_2) | instskip(NEXT) | instid1(VALU_DEP_2)
	v_add_co_u32 v0, vcc_lo, v0, v8
	v_add_co_ci_u32_e32 v3, vcc_lo, v3, v9, vcc_lo
	s_delay_alu instid0(VALU_DEP_2) | instskip(SKIP_1) | instid1(VALU_DEP_3)
	v_mul_hi_u32 v8, s3, v0
	v_mul_lo_u32 v10, s21, v0
	v_mul_lo_u32 v9, s3, v3
	s_delay_alu instid0(VALU_DEP_1) | instskip(SKIP_1) | instid1(VALU_DEP_2)
	v_add_nc_u32_e32 v8, v8, v9
	v_mul_lo_u32 v9, s3, v0
	v_add_nc_u32_e32 v8, v8, v10
	s_delay_alu instid0(VALU_DEP_2) | instskip(NEXT) | instid1(VALU_DEP_2)
	v_mul_hi_u32 v10, v0, v9
	v_mul_lo_u32 v11, v0, v8
	v_mul_hi_u32 v12, v0, v8
	v_mul_hi_u32 v13, v3, v9
	v_mul_lo_u32 v9, v3, v9
	v_mul_hi_u32 v15, v3, v8
	v_mul_lo_u32 v8, v3, v8
	v_add_co_u32 v10, vcc_lo, v10, v11
	v_add_co_ci_u32_e32 v11, vcc_lo, 0, v12, vcc_lo
	s_delay_alu instid0(VALU_DEP_2) | instskip(NEXT) | instid1(VALU_DEP_2)
	v_add_co_u32 v9, vcc_lo, v10, v9
	v_add_co_ci_u32_e32 v9, vcc_lo, v11, v13, vcc_lo
	v_add_co_ci_u32_e32 v10, vcc_lo, 0, v15, vcc_lo
	v_add_co_u32 v11, vcc_lo, v6, v14
	v_add_co_ci_u32_e32 v12, vcc_lo, 0, v14, vcc_lo
	s_delay_alu instid0(VALU_DEP_4) | instskip(NEXT) | instid1(VALU_DEP_4)
	v_add_co_u32 v8, vcc_lo, v9, v8
	v_add_co_ci_u32_e32 v9, vcc_lo, 0, v10, vcc_lo
	s_delay_alu instid0(VALU_DEP_4) | instskip(NEXT) | instid1(VALU_DEP_3)
	v_xor_b32_e32 v15, v11, v14
	v_add_co_u32 v0, vcc_lo, v0, v8
	s_delay_alu instid0(VALU_DEP_3) | instskip(SKIP_1) | instid1(VALU_DEP_3)
	v_add_co_ci_u32_e32 v3, vcc_lo, v3, v9, vcc_lo
	v_xor_b32_e32 v16, v12, v14
	v_mul_hi_u32 v17, v15, v0
	s_delay_alu instid0(VALU_DEP_3) | instskip(NEXT) | instid1(VALU_DEP_3)
	v_mad_u64_u32 v[8:9], null, v15, v3, 0
	v_mad_u64_u32 v[10:11], null, v16, v0, 0
	;; [unrolled: 1-line block ×3, first 2 shown]
	s_delay_alu instid0(VALU_DEP_3) | instskip(NEXT) | instid1(VALU_DEP_4)
	v_add_co_u32 v0, vcc_lo, v17, v8
	v_add_co_ci_u32_e32 v3, vcc_lo, 0, v9, vcc_lo
	s_delay_alu instid0(VALU_DEP_2) | instskip(NEXT) | instid1(VALU_DEP_2)
	v_add_co_u32 v0, vcc_lo, v0, v10
	v_add_co_ci_u32_e32 v0, vcc_lo, v3, v11, vcc_lo
	v_add_co_ci_u32_e32 v3, vcc_lo, 0, v13, vcc_lo
	s_delay_alu instid0(VALU_DEP_2) | instskip(NEXT) | instid1(VALU_DEP_2)
	v_add_co_u32 v0, vcc_lo, v0, v12
	v_add_co_ci_u32_e32 v3, vcc_lo, 0, v3, vcc_lo
	s_delay_alu instid0(VALU_DEP_2) | instskip(SKIP_1) | instid1(VALU_DEP_3)
	v_mul_lo_u32 v10, s25, v0
	v_mad_u64_u32 v[8:9], null, s24, v0, 0
	v_mul_lo_u32 v11, s24, v3
	s_delay_alu instid0(VALU_DEP_2) | instskip(NEXT) | instid1(VALU_DEP_2)
	v_sub_co_u32 v8, vcc_lo, v15, v8
	v_add3_u32 v9, v9, v11, v10
	s_delay_alu instid0(VALU_DEP_1) | instskip(NEXT) | instid1(VALU_DEP_1)
	v_sub_nc_u32_e32 v10, v16, v9
	v_subrev_co_ci_u32_e64 v10, s3, s25, v10, vcc_lo
	v_add_co_u32 v11, s3, v0, 2
	s_delay_alu instid0(VALU_DEP_1) | instskip(SKIP_3) | instid1(VALU_DEP_3)
	v_add_co_ci_u32_e64 v12, s3, 0, v3, s3
	v_sub_co_u32 v13, s3, v8, s24
	v_sub_co_ci_u32_e32 v9, vcc_lo, v16, v9, vcc_lo
	v_subrev_co_ci_u32_e64 v10, s3, 0, v10, s3
	v_cmp_le_u32_e32 vcc_lo, s24, v13
	s_delay_alu instid0(VALU_DEP_3) | instskip(SKIP_1) | instid1(VALU_DEP_4)
	v_cmp_eq_u32_e64 s3, s25, v9
	v_cndmask_b32_e64 v13, 0, -1, vcc_lo
	v_cmp_le_u32_e32 vcc_lo, s25, v10
	v_cndmask_b32_e64 v15, 0, -1, vcc_lo
	v_cmp_le_u32_e32 vcc_lo, s24, v8
	;; [unrolled: 2-line block ×3, first 2 shown]
	v_cndmask_b32_e64 v16, 0, -1, vcc_lo
	v_cmp_eq_u32_e32 vcc_lo, s25, v10
	s_delay_alu instid0(VALU_DEP_2) | instskip(SKIP_3) | instid1(VALU_DEP_3)
	v_cndmask_b32_e64 v8, v16, v8, s3
	v_cndmask_b32_e32 v10, v15, v13, vcc_lo
	v_add_co_u32 v13, vcc_lo, v0, 1
	v_add_co_ci_u32_e32 v15, vcc_lo, 0, v3, vcc_lo
	v_cmp_ne_u32_e32 vcc_lo, 0, v10
	s_delay_alu instid0(VALU_DEP_2) | instskip(SKIP_2) | instid1(VALU_DEP_3)
	v_dual_cndmask_b32 v9, v15, v12 :: v_dual_cndmask_b32 v10, v13, v11
	v_cmp_ne_u32_e32 vcc_lo, 0, v8
	v_xor_b32_e32 v8, s22, v14
	v_dual_cndmask_b32 v0, v0, v10 :: v_dual_cndmask_b32 v3, v3, v9
	v_xor_b32_e32 v9, s23, v14
	s_delay_alu instid0(VALU_DEP_2) | instskip(NEXT) | instid1(VALU_DEP_2)
	v_xor_b32_e32 v0, v0, v8
	v_xor_b32_e32 v3, v3, v9
	s_delay_alu instid0(VALU_DEP_2) | instskip(NEXT) | instid1(VALU_DEP_2)
	v_sub_co_u32 v10, vcc_lo, v0, v8
	v_sub_co_ci_u32_e32 v11, vcc_lo, v3, v9, vcc_lo
.LBB11_29:                              ;   in Loop: Header=BB11_27 Depth=2
	s_or_saveexec_b32 s3, s4
	v_cvt_f32_u32_e32 v0, s40
	s_xor_b32 exec_lo, exec_lo, s3
	s_cbranch_execz .LBB11_31
; %bb.30:                               ;   in Loop: Header=BB11_27 Depth=2
	s_delay_alu instid0(VALU_DEP_1) | instskip(SKIP_4) | instid1(VALU_DEP_1)
	v_rcp_iflag_f32_e32 v3, v0
	s_sub_i32 s4, 0, s40
	v_mov_b32_e32 v11, v2
	s_waitcnt_depctr 0xfff
	v_mul_f32_e32 v3, 0x4f7ffffe, v3
	v_cvt_u32_f32_e32 v3, v3
	s_delay_alu instid0(VALU_DEP_1) | instskip(NEXT) | instid1(VALU_DEP_1)
	v_mul_lo_u32 v8, s4, v3
	v_mul_hi_u32 v8, v3, v8
	s_delay_alu instid0(VALU_DEP_1) | instskip(NEXT) | instid1(VALU_DEP_1)
	v_add_nc_u32_e32 v3, v3, v8
	v_mul_hi_u32 v3, v6, v3
	s_delay_alu instid0(VALU_DEP_1) | instskip(SKIP_1) | instid1(VALU_DEP_2)
	v_mul_lo_u32 v8, v3, s40
	v_add_nc_u32_e32 v9, 1, v3
	v_sub_nc_u32_e32 v8, v6, v8
	s_delay_alu instid0(VALU_DEP_1) | instskip(SKIP_1) | instid1(VALU_DEP_2)
	v_subrev_nc_u32_e32 v10, s40, v8
	v_cmp_le_u32_e32 vcc_lo, s40, v8
	v_dual_cndmask_b32 v8, v8, v10 :: v_dual_cndmask_b32 v3, v3, v9
	s_delay_alu instid0(VALU_DEP_1) | instskip(NEXT) | instid1(VALU_DEP_2)
	v_cmp_le_u32_e32 vcc_lo, s40, v8
	v_add_nc_u32_e32 v9, 1, v3
	s_delay_alu instid0(VALU_DEP_1)
	v_cndmask_b32_e32 v10, v3, v9, vcc_lo
.LBB11_31:                              ;   in Loop: Header=BB11_27 Depth=2
	s_or_b32 exec_lo, exec_lo, s3
	v_mul_lo_u32 v3, v11, s40
	s_delay_alu instid0(VALU_DEP_2) | instskip(SKIP_2) | instid1(VALU_DEP_1)
	v_mul_lo_u32 v11, v10, s33
	v_mad_u64_u32 v[8:9], null, v10, s40, 0
                                        ; implicit-def: $vgpr14_vgpr15
	s_mov_b32 s3, exec_lo
	v_add3_u32 v3, v9, v11, v3
	s_delay_alu instid0(VALU_DEP_2) | instskip(NEXT) | instid1(VALU_DEP_2)
	v_sub_co_u32 v11, vcc_lo, v6, v8
	v_sub_co_ci_u32_e32 v3, vcc_lo, 0, v3, vcc_lo
	s_delay_alu instid0(VALU_DEP_2) | instskip(SKIP_1) | instid1(VALU_DEP_3)
	v_mul_lo_u32 v12, v11, s46
	v_mad_u64_u32 v[8:9], null, v11, s42, 0
	v_mul_lo_u32 v3, v3, s42
	s_delay_alu instid0(VALU_DEP_1) | instskip(NEXT) | instid1(VALU_DEP_1)
	v_add3_u32 v9, v9, v12, v3
	v_or_b32_e32 v3, s33, v9
	s_delay_alu instid0(VALU_DEP_1)
	v_cmpx_ne_u64_e32 0, v[2:3]
	s_xor_b32 s4, exec_lo, s3
	s_cbranch_execz .LBB11_33
; %bb.32:                               ;   in Loop: Header=BB11_27 Depth=2
	s_add_u32 s24, s40, s33
	s_mov_b32 s22, s33
	s_mov_b32 s23, s33
	s_addc_u32 s25, s33, s33
	s_delay_alu instid0(SALU_CYCLE_1) | instskip(NEXT) | instid1(SALU_CYCLE_1)
	s_xor_b64 s[24:25], s[24:25], s[22:23]
	v_cvt_f32_u32_e32 v3, s24
	v_cvt_f32_u32_e32 v11, s25
	s_sub_u32 s3, 0, s24
	s_subb_u32 s21, 0, s25
	s_delay_alu instid0(VALU_DEP_1) | instskip(NEXT) | instid1(VALU_DEP_1)
	v_fmac_f32_e32 v3, 0x4f800000, v11
	v_rcp_f32_e32 v3, v3
	s_waitcnt_depctr 0xfff
	v_mul_f32_e32 v3, 0x5f7ffffc, v3
	s_delay_alu instid0(VALU_DEP_1) | instskip(NEXT) | instid1(VALU_DEP_1)
	v_mul_f32_e32 v11, 0x2f800000, v3
	v_trunc_f32_e32 v11, v11
	s_delay_alu instid0(VALU_DEP_1) | instskip(SKIP_1) | instid1(VALU_DEP_2)
	v_fmac_f32_e32 v3, 0xcf800000, v11
	v_cvt_u32_f32_e32 v11, v11
	v_cvt_u32_f32_e32 v3, v3
	s_delay_alu instid0(VALU_DEP_2) | instskip(NEXT) | instid1(VALU_DEP_2)
	v_mul_lo_u32 v12, s3, v11
	v_mul_hi_u32 v13, s3, v3
	v_mul_lo_u32 v14, s21, v3
	s_delay_alu instid0(VALU_DEP_2) | instskip(SKIP_1) | instid1(VALU_DEP_2)
	v_add_nc_u32_e32 v12, v13, v12
	v_mul_lo_u32 v13, s3, v3
	v_add_nc_u32_e32 v12, v12, v14
	s_delay_alu instid0(VALU_DEP_2) | instskip(NEXT) | instid1(VALU_DEP_2)
	v_mul_hi_u32 v14, v3, v13
	v_mul_lo_u32 v15, v3, v12
	v_mul_hi_u32 v16, v3, v12
	v_mul_hi_u32 v17, v11, v13
	v_mul_lo_u32 v13, v11, v13
	v_mul_hi_u32 v18, v11, v12
	v_mul_lo_u32 v12, v11, v12
	v_add_co_u32 v14, vcc_lo, v14, v15
	v_add_co_ci_u32_e32 v15, vcc_lo, 0, v16, vcc_lo
	s_delay_alu instid0(VALU_DEP_2) | instskip(NEXT) | instid1(VALU_DEP_2)
	v_add_co_u32 v13, vcc_lo, v14, v13
	v_add_co_ci_u32_e32 v13, vcc_lo, v15, v17, vcc_lo
	v_add_co_ci_u32_e32 v14, vcc_lo, 0, v18, vcc_lo
	v_ashrrev_i32_e32 v17, 31, v9
	s_delay_alu instid0(VALU_DEP_3) | instskip(NEXT) | instid1(VALU_DEP_3)
	v_add_co_u32 v12, vcc_lo, v13, v12
	v_add_co_ci_u32_e32 v13, vcc_lo, 0, v14, vcc_lo
	s_delay_alu instid0(VALU_DEP_2) | instskip(NEXT) | instid1(VALU_DEP_2)
	v_add_co_u32 v3, vcc_lo, v3, v12
	v_add_co_ci_u32_e32 v11, vcc_lo, v11, v13, vcc_lo
	s_delay_alu instid0(VALU_DEP_2) | instskip(SKIP_1) | instid1(VALU_DEP_3)
	v_mul_hi_u32 v12, s3, v3
	v_mul_lo_u32 v14, s21, v3
	v_mul_lo_u32 v13, s3, v11
	s_delay_alu instid0(VALU_DEP_1) | instskip(SKIP_1) | instid1(VALU_DEP_2)
	v_add_nc_u32_e32 v12, v12, v13
	v_mul_lo_u32 v13, s3, v3
	v_add_nc_u32_e32 v12, v12, v14
	s_delay_alu instid0(VALU_DEP_2) | instskip(NEXT) | instid1(VALU_DEP_2)
	v_mul_hi_u32 v14, v3, v13
	v_mul_lo_u32 v15, v3, v12
	v_mul_hi_u32 v16, v3, v12
	v_mul_hi_u32 v18, v11, v13
	v_mul_lo_u32 v13, v11, v13
	v_mul_hi_u32 v19, v11, v12
	v_mul_lo_u32 v12, v11, v12
	v_add_co_u32 v14, vcc_lo, v14, v15
	v_add_co_ci_u32_e32 v15, vcc_lo, 0, v16, vcc_lo
	s_delay_alu instid0(VALU_DEP_2) | instskip(NEXT) | instid1(VALU_DEP_2)
	v_add_co_u32 v13, vcc_lo, v14, v13
	v_add_co_ci_u32_e32 v13, vcc_lo, v15, v18, vcc_lo
	v_add_co_ci_u32_e32 v14, vcc_lo, 0, v19, vcc_lo
	v_add_co_u32 v8, vcc_lo, v8, v17
	v_add_co_ci_u32_e32 v9, vcc_lo, v9, v17, vcc_lo
	s_delay_alu instid0(VALU_DEP_4) | instskip(NEXT) | instid1(VALU_DEP_4)
	v_add_co_u32 v12, vcc_lo, v13, v12
	v_add_co_ci_u32_e32 v13, vcc_lo, 0, v14, vcc_lo
	s_delay_alu instid0(VALU_DEP_4) | instskip(NEXT) | instid1(VALU_DEP_3)
	v_xor_b32_e32 v15, v8, v17
	v_add_co_u32 v3, vcc_lo, v3, v12
	s_delay_alu instid0(VALU_DEP_3) | instskip(SKIP_1) | instid1(VALU_DEP_3)
	v_add_co_ci_u32_e32 v16, vcc_lo, v11, v13, vcc_lo
	v_xor_b32_e32 v18, v9, v17
	v_mul_hi_u32 v19, v15, v3
	s_delay_alu instid0(VALU_DEP_3) | instskip(NEXT) | instid1(VALU_DEP_3)
	v_mad_u64_u32 v[8:9], null, v15, v16, 0
	v_mad_u64_u32 v[11:12], null, v18, v3, 0
	;; [unrolled: 1-line block ×3, first 2 shown]
	s_delay_alu instid0(VALU_DEP_3) | instskip(NEXT) | instid1(VALU_DEP_4)
	v_add_co_u32 v3, vcc_lo, v19, v8
	v_add_co_ci_u32_e32 v8, vcc_lo, 0, v9, vcc_lo
	s_delay_alu instid0(VALU_DEP_2) | instskip(NEXT) | instid1(VALU_DEP_2)
	v_add_co_u32 v3, vcc_lo, v3, v11
	v_add_co_ci_u32_e32 v3, vcc_lo, v8, v12, vcc_lo
	v_add_co_ci_u32_e32 v8, vcc_lo, 0, v14, vcc_lo
	s_delay_alu instid0(VALU_DEP_2) | instskip(NEXT) | instid1(VALU_DEP_2)
	v_add_co_u32 v3, vcc_lo, v3, v13
	v_add_co_ci_u32_e32 v11, vcc_lo, 0, v8, vcc_lo
	s_delay_alu instid0(VALU_DEP_2) | instskip(SKIP_1) | instid1(VALU_DEP_3)
	v_mul_lo_u32 v12, s25, v3
	v_mad_u64_u32 v[8:9], null, s24, v3, 0
	v_mul_lo_u32 v11, s24, v11
	s_delay_alu instid0(VALU_DEP_2) | instskip(NEXT) | instid1(VALU_DEP_2)
	v_sub_co_u32 v8, vcc_lo, v15, v8
	v_add3_u32 v9, v9, v11, v12
	v_add_co_u32 v12, s3, v3, 2
	s_delay_alu instid0(VALU_DEP_2) | instskip(NEXT) | instid1(VALU_DEP_1)
	v_sub_nc_u32_e32 v11, v18, v9
	v_subrev_co_ci_u32_e64 v11, s3, s25, v11, vcc_lo
	v_sub_co_u32 v13, s3, v8, s24
	v_sub_co_ci_u32_e32 v9, vcc_lo, v18, v9, vcc_lo
	s_delay_alu instid0(VALU_DEP_3) | instskip(NEXT) | instid1(VALU_DEP_3)
	v_subrev_co_ci_u32_e64 v11, s3, 0, v11, s3
	v_cmp_le_u32_e32 vcc_lo, s24, v13
	v_cndmask_b32_e64 v13, 0, -1, vcc_lo
	s_delay_alu instid0(VALU_DEP_3)
	v_cmp_le_u32_e32 vcc_lo, s25, v11
	v_cndmask_b32_e64 v14, 0, -1, vcc_lo
	v_cmp_le_u32_e32 vcc_lo, s24, v8
	v_cndmask_b32_e64 v8, 0, -1, vcc_lo
	v_cmp_le_u32_e32 vcc_lo, s25, v9
	v_cndmask_b32_e64 v15, 0, -1, vcc_lo
	v_cmp_eq_u32_e32 vcc_lo, s25, v11
	v_cndmask_b32_e32 v11, v14, v13, vcc_lo
	v_add_co_u32 v13, vcc_lo, v3, 1
	v_cmp_eq_u32_e32 vcc_lo, s25, v9
	v_cndmask_b32_e32 v8, v15, v8, vcc_lo
	s_delay_alu instid0(VALU_DEP_4) | instskip(NEXT) | instid1(VALU_DEP_4)
	v_cmp_ne_u32_e32 vcc_lo, 0, v11
	v_cndmask_b32_e32 v9, v13, v12, vcc_lo
	s_delay_alu instid0(VALU_DEP_3) | instskip(SKIP_1) | instid1(VALU_DEP_3)
	v_cmp_ne_u32_e32 vcc_lo, 0, v8
	v_xor_b32_e32 v8, s22, v17
	v_cndmask_b32_e32 v3, v3, v9, vcc_lo
	s_delay_alu instid0(VALU_DEP_1) | instskip(NEXT) | instid1(VALU_DEP_1)
	v_xor_b32_e32 v3, v3, v8
	v_sub_co_u32 v14, vcc_lo, v3, v8
                                        ; implicit-def: $vgpr8_vgpr9
.LBB11_33:                              ;   in Loop: Header=BB11_27 Depth=2
	s_and_not1_saveexec_b32 s3, s4
	s_cbranch_execz .LBB11_35
; %bb.34:                               ;   in Loop: Header=BB11_27 Depth=2
	v_rcp_iflag_f32_e32 v3, v0
	s_sub_i32 s4, 0, s40
	s_waitcnt_depctr 0xfff
	v_mul_f32_e32 v3, 0x4f7ffffe, v3
	s_delay_alu instid0(VALU_DEP_1) | instskip(NEXT) | instid1(VALU_DEP_1)
	v_cvt_u32_f32_e32 v3, v3
	v_mul_lo_u32 v9, s4, v3
	s_delay_alu instid0(VALU_DEP_1) | instskip(NEXT) | instid1(VALU_DEP_1)
	v_mul_hi_u32 v9, v3, v9
	v_add_nc_u32_e32 v3, v3, v9
	s_delay_alu instid0(VALU_DEP_1) | instskip(NEXT) | instid1(VALU_DEP_1)
	v_mul_hi_u32 v3, v8, v3
	v_mul_lo_u32 v9, v3, s40
	s_delay_alu instid0(VALU_DEP_1) | instskip(SKIP_1) | instid1(VALU_DEP_2)
	v_sub_nc_u32_e32 v8, v8, v9
	v_add_nc_u32_e32 v9, 1, v3
	v_subrev_nc_u32_e32 v11, s40, v8
	v_cmp_le_u32_e32 vcc_lo, s40, v8
	s_delay_alu instid0(VALU_DEP_2) | instskip(NEXT) | instid1(VALU_DEP_1)
	v_dual_cndmask_b32 v8, v8, v11 :: v_dual_cndmask_b32 v3, v3, v9
	v_cmp_le_u32_e32 vcc_lo, s40, v8
	s_delay_alu instid0(VALU_DEP_2) | instskip(NEXT) | instid1(VALU_DEP_1)
	v_add_nc_u32_e32 v9, 1, v3
	v_cndmask_b32_e32 v14, v3, v9, vcc_lo
.LBB11_35:                              ;   in Loop: Header=BB11_27 Depth=2
	s_or_b32 exec_lo, exec_lo, s3
	v_add_co_u32 v3, s3, v6, 1
	s_delay_alu instid0(VALU_DEP_1) | instskip(SKIP_1) | instid1(VALU_DEP_2)
	v_add_co_ci_u32_e64 v8, null, 0, 0, s3
	s_mov_b32 s3, exec_lo
	v_mul_lo_u32 v11, v3, s46
	s_delay_alu instid0(VALU_DEP_2) | instskip(SKIP_1) | instid1(VALU_DEP_1)
	v_mul_lo_u32 v12, v8, s42
	v_mad_u64_u32 v[8:9], null, v3, s42, -1
	v_add3_u32 v9, v12, v9, v11
                                        ; implicit-def: $vgpr11_vgpr12
	s_delay_alu instid0(VALU_DEP_1) | instskip(NEXT) | instid1(VALU_DEP_1)
	v_or_b32_e32 v3, s33, v9
	v_cmpx_ne_u64_e32 0, v[2:3]
	s_xor_b32 s4, exec_lo, s3
	s_cbranch_execnz .LBB11_38
; %bb.36:                               ;   in Loop: Header=BB11_27 Depth=2
	s_and_not1_saveexec_b32 s3, s4
	s_cbranch_execnz .LBB11_39
.LBB11_37:                              ;   in Loop: Header=BB11_27 Depth=2
	s_or_b32 exec_lo, exec_lo, s3
	s_delay_alu instid0(SALU_CYCLE_1)
	s_and_not1_b32 vcc_lo, exec_lo, s1
	s_cbranch_vccnz .LBB11_26
	s_branch .LBB11_40
.LBB11_38:                              ;   in Loop: Header=BB11_27 Depth=2
	s_add_u32 s24, s40, s33
	s_mov_b32 s22, s33
	s_mov_b32 s23, s33
	s_addc_u32 s25, s33, s33
	s_delay_alu instid0(SALU_CYCLE_1) | instskip(NEXT) | instid1(SALU_CYCLE_1)
	s_xor_b64 s[24:25], s[24:25], s[22:23]
	v_cvt_f32_u32_e32 v0, s24
	v_cvt_f32_u32_e32 v3, s25
	s_sub_u32 s3, 0, s24
	s_subb_u32 s21, 0, s25
	s_delay_alu instid0(VALU_DEP_1) | instskip(NEXT) | instid1(VALU_DEP_1)
	v_fmac_f32_e32 v0, 0x4f800000, v3
	v_rcp_f32_e32 v0, v0
	s_waitcnt_depctr 0xfff
	v_mul_f32_e32 v0, 0x5f7ffffc, v0
	s_delay_alu instid0(VALU_DEP_1) | instskip(NEXT) | instid1(VALU_DEP_1)
	v_mul_f32_e32 v3, 0x2f800000, v0
	v_trunc_f32_e32 v3, v3
	s_delay_alu instid0(VALU_DEP_1) | instskip(SKIP_1) | instid1(VALU_DEP_2)
	v_fmac_f32_e32 v0, 0xcf800000, v3
	v_cvt_u32_f32_e32 v3, v3
	v_cvt_u32_f32_e32 v0, v0
	s_delay_alu instid0(VALU_DEP_2) | instskip(NEXT) | instid1(VALU_DEP_2)
	v_mul_lo_u32 v11, s3, v3
	v_mul_hi_u32 v12, s3, v0
	v_mul_lo_u32 v13, s21, v0
	s_delay_alu instid0(VALU_DEP_2) | instskip(SKIP_1) | instid1(VALU_DEP_2)
	v_add_nc_u32_e32 v11, v12, v11
	v_mul_lo_u32 v12, s3, v0
	v_add_nc_u32_e32 v11, v11, v13
	s_delay_alu instid0(VALU_DEP_2) | instskip(NEXT) | instid1(VALU_DEP_2)
	v_mul_hi_u32 v13, v0, v12
	v_mul_lo_u32 v15, v0, v11
	v_mul_hi_u32 v16, v0, v11
	v_mul_hi_u32 v17, v3, v12
	v_mul_lo_u32 v12, v3, v12
	v_mul_hi_u32 v18, v3, v11
	v_mul_lo_u32 v11, v3, v11
	v_add_co_u32 v13, vcc_lo, v13, v15
	v_add_co_ci_u32_e32 v15, vcc_lo, 0, v16, vcc_lo
	s_delay_alu instid0(VALU_DEP_2) | instskip(NEXT) | instid1(VALU_DEP_2)
	v_add_co_u32 v12, vcc_lo, v13, v12
	v_add_co_ci_u32_e32 v12, vcc_lo, v15, v17, vcc_lo
	v_add_co_ci_u32_e32 v13, vcc_lo, 0, v18, vcc_lo
	v_ashrrev_i32_e32 v17, 31, v9
	s_delay_alu instid0(VALU_DEP_3) | instskip(NEXT) | instid1(VALU_DEP_3)
	v_add_co_u32 v11, vcc_lo, v12, v11
	v_add_co_ci_u32_e32 v12, vcc_lo, 0, v13, vcc_lo
	s_delay_alu instid0(VALU_DEP_2) | instskip(NEXT) | instid1(VALU_DEP_2)
	v_add_co_u32 v0, vcc_lo, v0, v11
	v_add_co_ci_u32_e32 v3, vcc_lo, v3, v12, vcc_lo
	s_delay_alu instid0(VALU_DEP_2) | instskip(SKIP_1) | instid1(VALU_DEP_3)
	v_mul_hi_u32 v11, s3, v0
	v_mul_lo_u32 v13, s21, v0
	v_mul_lo_u32 v12, s3, v3
	s_delay_alu instid0(VALU_DEP_1) | instskip(SKIP_1) | instid1(VALU_DEP_2)
	v_add_nc_u32_e32 v11, v11, v12
	v_mul_lo_u32 v12, s3, v0
	v_add_nc_u32_e32 v11, v11, v13
	s_delay_alu instid0(VALU_DEP_2) | instskip(NEXT) | instid1(VALU_DEP_2)
	v_mul_hi_u32 v13, v0, v12
	v_mul_lo_u32 v15, v0, v11
	v_mul_hi_u32 v16, v0, v11
	v_mul_hi_u32 v18, v3, v12
	v_mul_lo_u32 v12, v3, v12
	v_mul_hi_u32 v19, v3, v11
	v_mul_lo_u32 v11, v3, v11
	v_add_co_u32 v13, vcc_lo, v13, v15
	v_add_co_ci_u32_e32 v15, vcc_lo, 0, v16, vcc_lo
	s_delay_alu instid0(VALU_DEP_2) | instskip(NEXT) | instid1(VALU_DEP_2)
	v_add_co_u32 v12, vcc_lo, v13, v12
	v_add_co_ci_u32_e32 v12, vcc_lo, v15, v18, vcc_lo
	v_add_co_ci_u32_e32 v13, vcc_lo, 0, v19, vcc_lo
	v_add_co_u32 v8, vcc_lo, v8, v17
	v_add_co_ci_u32_e32 v9, vcc_lo, v9, v17, vcc_lo
	s_delay_alu instid0(VALU_DEP_4) | instskip(NEXT) | instid1(VALU_DEP_4)
	v_add_co_u32 v11, vcc_lo, v12, v11
	v_add_co_ci_u32_e32 v12, vcc_lo, 0, v13, vcc_lo
	s_delay_alu instid0(VALU_DEP_4) | instskip(NEXT) | instid1(VALU_DEP_3)
	v_xor_b32_e32 v13, v8, v17
	v_add_co_u32 v0, vcc_lo, v0, v11
	s_delay_alu instid0(VALU_DEP_3) | instskip(SKIP_1) | instid1(VALU_DEP_3)
	v_add_co_ci_u32_e32 v3, vcc_lo, v3, v12, vcc_lo
	v_xor_b32_e32 v18, v9, v17
	v_mul_hi_u32 v19, v13, v0
	s_delay_alu instid0(VALU_DEP_3) | instskip(NEXT) | instid1(VALU_DEP_3)
	v_mad_u64_u32 v[8:9], null, v13, v3, 0
	v_mad_u64_u32 v[11:12], null, v18, v0, 0
	;; [unrolled: 1-line block ×3, first 2 shown]
	s_delay_alu instid0(VALU_DEP_3) | instskip(NEXT) | instid1(VALU_DEP_4)
	v_add_co_u32 v0, vcc_lo, v19, v8
	v_add_co_ci_u32_e32 v3, vcc_lo, 0, v9, vcc_lo
	s_delay_alu instid0(VALU_DEP_2) | instskip(NEXT) | instid1(VALU_DEP_2)
	v_add_co_u32 v0, vcc_lo, v0, v11
	v_add_co_ci_u32_e32 v0, vcc_lo, v3, v12, vcc_lo
	v_add_co_ci_u32_e32 v3, vcc_lo, 0, v16, vcc_lo
	s_delay_alu instid0(VALU_DEP_2) | instskip(NEXT) | instid1(VALU_DEP_2)
	v_add_co_u32 v0, vcc_lo, v0, v15
	v_add_co_ci_u32_e32 v3, vcc_lo, 0, v3, vcc_lo
	s_delay_alu instid0(VALU_DEP_2) | instskip(SKIP_1) | instid1(VALU_DEP_3)
	v_mul_lo_u32 v11, s25, v0
	v_mad_u64_u32 v[8:9], null, s24, v0, 0
	v_mul_lo_u32 v3, s24, v3
	s_delay_alu instid0(VALU_DEP_2) | instskip(NEXT) | instid1(VALU_DEP_2)
	v_sub_co_u32 v8, vcc_lo, v13, v8
	v_add3_u32 v3, v9, v3, v11
	v_add_co_u32 v11, s3, v0, 2
	s_delay_alu instid0(VALU_DEP_2) | instskip(NEXT) | instid1(VALU_DEP_1)
	v_sub_nc_u32_e32 v9, v18, v3
	v_subrev_co_ci_u32_e64 v9, s3, s25, v9, vcc_lo
	v_sub_co_u32 v12, s3, v8, s24
	v_sub_co_ci_u32_e32 v3, vcc_lo, v18, v3, vcc_lo
	s_delay_alu instid0(VALU_DEP_3) | instskip(NEXT) | instid1(VALU_DEP_3)
	v_subrev_co_ci_u32_e64 v9, s3, 0, v9, s3
	v_cmp_le_u32_e32 vcc_lo, s24, v12
	v_cndmask_b32_e64 v12, 0, -1, vcc_lo
	s_delay_alu instid0(VALU_DEP_3)
	v_cmp_le_u32_e32 vcc_lo, s25, v9
	v_cndmask_b32_e64 v13, 0, -1, vcc_lo
	v_cmp_le_u32_e32 vcc_lo, s24, v8
	v_cndmask_b32_e64 v8, 0, -1, vcc_lo
	;; [unrolled: 2-line block ×3, first 2 shown]
	v_cmp_eq_u32_e32 vcc_lo, s25, v9
	v_cndmask_b32_e32 v9, v13, v12, vcc_lo
	v_add_co_u32 v12, vcc_lo, v0, 1
	v_cmp_eq_u32_e32 vcc_lo, s25, v3
	v_cndmask_b32_e32 v3, v15, v8, vcc_lo
	s_delay_alu instid0(VALU_DEP_4) | instskip(NEXT) | instid1(VALU_DEP_4)
	v_cmp_ne_u32_e32 vcc_lo, 0, v9
	v_cndmask_b32_e32 v8, v12, v11, vcc_lo
	s_delay_alu instid0(VALU_DEP_3) | instskip(SKIP_1) | instid1(VALU_DEP_3)
	v_cmp_ne_u32_e32 vcc_lo, 0, v3
	v_xor_b32_e32 v3, s22, v17
	v_cndmask_b32_e32 v0, v0, v8, vcc_lo
                                        ; implicit-def: $vgpr8_vgpr9
	s_delay_alu instid0(VALU_DEP_1) | instskip(NEXT) | instid1(VALU_DEP_1)
	v_xor_b32_e32 v0, v0, v3
	v_sub_co_u32 v11, vcc_lo, v0, v3
                                        ; implicit-def: $vgpr0
	s_and_not1_saveexec_b32 s3, s4
	s_cbranch_execz .LBB11_37
.LBB11_39:                              ;   in Loop: Header=BB11_27 Depth=2
	v_rcp_iflag_f32_e32 v0, v0
	s_sub_i32 s4, 0, s40
	s_waitcnt_depctr 0xfff
	v_mul_f32_e32 v0, 0x4f7ffffe, v0
	s_delay_alu instid0(VALU_DEP_1) | instskip(NEXT) | instid1(VALU_DEP_1)
	v_cvt_u32_f32_e32 v0, v0
	v_mul_lo_u32 v3, s4, v0
	s_delay_alu instid0(VALU_DEP_1) | instskip(NEXT) | instid1(VALU_DEP_1)
	v_mul_hi_u32 v3, v0, v3
	v_add_nc_u32_e32 v0, v0, v3
	s_delay_alu instid0(VALU_DEP_1) | instskip(NEXT) | instid1(VALU_DEP_1)
	v_mul_hi_u32 v0, v8, v0
	v_mul_lo_u32 v3, v0, s40
	s_delay_alu instid0(VALU_DEP_1) | instskip(SKIP_1) | instid1(VALU_DEP_2)
	v_sub_nc_u32_e32 v3, v8, v3
	v_add_nc_u32_e32 v8, 1, v0
	v_subrev_nc_u32_e32 v9, s40, v3
	v_cmp_le_u32_e32 vcc_lo, s40, v3
	s_delay_alu instid0(VALU_DEP_2) | instskip(NEXT) | instid1(VALU_DEP_1)
	v_dual_cndmask_b32 v3, v3, v9 :: v_dual_cndmask_b32 v0, v0, v8
	v_cmp_le_u32_e32 vcc_lo, s40, v3
	s_delay_alu instid0(VALU_DEP_2) | instskip(NEXT) | instid1(VALU_DEP_1)
	v_add_nc_u32_e32 v8, 1, v0
	v_cndmask_b32_e32 v11, v0, v8, vcc_lo
	s_or_b32 exec_lo, exec_lo, s3
	s_delay_alu instid0(SALU_CYCLE_1)
	s_and_not1_b32 vcc_lo, exec_lo, s1
	s_cbranch_vccnz .LBB11_26
.LBB11_40:                              ;   in Loop: Header=BB11_27 Depth=2
	v_mad_u64_u32 v[8:9], null, v10, s42, v[14:15]
	v_lshlrev_b64 v[15:16], 1, v[6:7]
	v_add_nc_u32_e32 v36, 1, v11
	v_add_nc_u32_e32 v7, v5, v10
	s_mov_b64 s[22:23], s[14:15]
	s_mov_b32 s24, s16
	s_delay_alu instid0(VALU_DEP_4) | instskip(SKIP_2) | instid1(VALU_DEP_3)
	v_ashrrev_i32_e32 v9, 31, v8
	v_add_co_u32 v0, vcc_lo, v8, 1
	v_mad_u64_u32 v[12:13], null, s9, v7, v[14:15]
	v_add_co_ci_u32_e32 v3, vcc_lo, 0, v9, vcc_lo
	s_delay_alu instid0(VALU_DEP_3) | instskip(SKIP_1) | instid1(VALU_DEP_3)
	v_mul_lo_u32 v17, s33, v0
	v_mad_u64_u32 v[10:11], null, s40, v0, -1
	v_mul_lo_u32 v3, s40, v3
	v_add_co_u32 v13, vcc_lo, v34, v15
	v_add_co_ci_u32_e32 v14, vcc_lo, v35, v16, vcc_lo
	v_cmp_gt_i32_e64 s3, v36, v8
	s_delay_alu instid0(VALU_DEP_4)
	v_add3_u32 v11, v17, v11, v3
	s_branch .LBB11_42
.LBB11_41:                              ;   in Loop: Header=BB11_42 Depth=3
	s_or_b32 exec_lo, exec_lo, s21
	s_add_i32 s24, s24, 1
	s_add_u32 s22, s22, s18
	v_cmp_lt_i32_e32 vcc_lo, s24, v29
	s_addc_u32 s23, s23, s19
	s_cbranch_vccz .LBB11_26
.LBB11_42:                              ;   Parent Loop BB11_12 Depth=1
                                        ;     Parent Loop BB11_27 Depth=2
                                        ; =>    This Loop Header: Depth=3
                                        ;         Child Loop BB11_54 Depth 4
                                        ;           Child Loop BB11_69 Depth 5
	s_ashr_i32 s25, s24, 31
	s_add_u32 s4, s24, 1
	s_addc_u32 s27, s25, 0
	s_mul_i32 s21, s4, s11
	s_mul_hi_u32 s26, s4, s10
	s_mul_i32 s27, s27, s10
	s_add_i32 s21, s26, s21
	s_mul_i32 s4, s4, s10
	s_add_i32 s21, s21, s27
	s_add_u32 s26, s4, -1
	s_addc_u32 s27, s21, -1
	s_delay_alu instid0(SALU_CYCLE_1) | instskip(NEXT) | instid1(SALU_CYCLE_1)
	s_or_b64 s[28:29], s[26:27], s[12:13]
	s_mov_b32 s21, s29
	s_delay_alu instid0(SALU_CYCLE_1)
	s_cmp_lg_u64 s[20:21], 0
	s_cbranch_scc0 .LBB11_81
; %bb.43:                               ;   in Loop: Header=BB11_42 Depth=3
	s_add_u32 s30, s12, s13
	s_mov_b32 s28, s13
	s_mov_b32 s29, s13
	s_addc_u32 s31, s13, s13
	s_delay_alu instid0(SALU_CYCLE_1) | instskip(NEXT) | instid1(SALU_CYCLE_1)
	s_xor_b64 s[30:31], s[30:31], s[28:29]
	v_cvt_f32_u32_e32 v0, s30
	v_cvt_f32_u32_e32 v3, s31
	s_sub_u32 s4, 0, s30
	s_subb_u32 s21, 0, s31
	s_ashr_i32 s34, s27, 31
	s_delay_alu instid0(VALU_DEP_1)
	v_fmac_f32_e32 v0, 0x4f800000, v3
	s_add_u32 s50, s26, s34
	s_mov_b32 s35, s34
	s_addc_u32 s51, s27, s34
	s_xor_b64 s[28:29], s[34:35], s[28:29]
	v_rcp_f32_e32 v0, v0
	s_xor_b64 s[50:51], s[50:51], s[34:35]
	s_waitcnt_depctr 0xfff
	v_mul_f32_e32 v0, 0x5f7ffffc, v0
	s_delay_alu instid0(VALU_DEP_1) | instskip(NEXT) | instid1(VALU_DEP_1)
	v_mul_f32_e32 v3, 0x2f800000, v0
	v_trunc_f32_e32 v3, v3
	s_delay_alu instid0(VALU_DEP_1) | instskip(SKIP_1) | instid1(VALU_DEP_2)
	v_fmac_f32_e32 v0, 0xcf800000, v3
	v_cvt_u32_f32_e32 v3, v3
	v_cvt_u32_f32_e32 v0, v0
	s_delay_alu instid0(VALU_DEP_2) | instskip(NEXT) | instid1(VALU_DEP_2)
	v_mul_lo_u32 v7, s4, v3
	v_mul_hi_u32 v15, s4, v0
	v_mul_lo_u32 v16, s21, v0
	s_delay_alu instid0(VALU_DEP_2) | instskip(SKIP_1) | instid1(VALU_DEP_2)
	v_add_nc_u32_e32 v7, v15, v7
	v_mul_lo_u32 v15, s4, v0
	v_add_nc_u32_e32 v7, v7, v16
	s_delay_alu instid0(VALU_DEP_2) | instskip(NEXT) | instid1(VALU_DEP_2)
	v_mul_hi_u32 v16, v0, v15
	v_mul_lo_u32 v17, v0, v7
	v_mul_hi_u32 v18, v0, v7
	v_mul_hi_u32 v19, v3, v15
	v_mul_lo_u32 v15, v3, v15
	v_mul_hi_u32 v20, v3, v7
	v_mul_lo_u32 v7, v3, v7
	v_add_co_u32 v16, vcc_lo, v16, v17
	v_add_co_ci_u32_e32 v17, vcc_lo, 0, v18, vcc_lo
	s_delay_alu instid0(VALU_DEP_2) | instskip(NEXT) | instid1(VALU_DEP_2)
	v_add_co_u32 v15, vcc_lo, v16, v15
	v_add_co_ci_u32_e32 v15, vcc_lo, v17, v19, vcc_lo
	v_add_co_ci_u32_e32 v16, vcc_lo, 0, v20, vcc_lo
	s_delay_alu instid0(VALU_DEP_2) | instskip(NEXT) | instid1(VALU_DEP_2)
	v_add_co_u32 v7, vcc_lo, v15, v7
	v_add_co_ci_u32_e32 v15, vcc_lo, 0, v16, vcc_lo
	s_delay_alu instid0(VALU_DEP_2) | instskip(NEXT) | instid1(VALU_DEP_2)
	v_add_co_u32 v0, vcc_lo, v0, v7
	v_add_co_ci_u32_e32 v3, vcc_lo, v3, v15, vcc_lo
	s_delay_alu instid0(VALU_DEP_2) | instskip(SKIP_1) | instid1(VALU_DEP_3)
	v_mul_hi_u32 v7, s4, v0
	v_mul_lo_u32 v16, s21, v0
	v_mul_lo_u32 v15, s4, v3
	s_delay_alu instid0(VALU_DEP_1) | instskip(SKIP_1) | instid1(VALU_DEP_2)
	v_add_nc_u32_e32 v7, v7, v15
	v_mul_lo_u32 v15, s4, v0
	v_add_nc_u32_e32 v7, v7, v16
	s_delay_alu instid0(VALU_DEP_2) | instskip(NEXT) | instid1(VALU_DEP_2)
	v_mul_hi_u32 v16, v0, v15
	v_mul_lo_u32 v17, v0, v7
	v_mul_hi_u32 v18, v0, v7
	v_mul_hi_u32 v19, v3, v15
	v_mul_lo_u32 v15, v3, v15
	v_mul_hi_u32 v20, v3, v7
	v_mul_lo_u32 v7, v3, v7
	v_add_co_u32 v16, vcc_lo, v16, v17
	v_add_co_ci_u32_e32 v17, vcc_lo, 0, v18, vcc_lo
	s_delay_alu instid0(VALU_DEP_2) | instskip(NEXT) | instid1(VALU_DEP_2)
	v_add_co_u32 v15, vcc_lo, v16, v15
	v_add_co_ci_u32_e32 v15, vcc_lo, v17, v19, vcc_lo
	v_add_co_ci_u32_e32 v16, vcc_lo, 0, v20, vcc_lo
	s_delay_alu instid0(VALU_DEP_2) | instskip(NEXT) | instid1(VALU_DEP_2)
	v_add_co_u32 v7, vcc_lo, v15, v7
	v_add_co_ci_u32_e32 v15, vcc_lo, 0, v16, vcc_lo
	s_delay_alu instid0(VALU_DEP_2) | instskip(NEXT) | instid1(VALU_DEP_2)
	v_add_co_u32 v0, vcc_lo, v0, v7
	v_add_co_ci_u32_e32 v3, vcc_lo, v3, v15, vcc_lo
	s_delay_alu instid0(VALU_DEP_2) | instskip(SKIP_1) | instid1(VALU_DEP_3)
	v_mul_hi_u32 v7, s50, v0
	v_mul_hi_u32 v17, s51, v0
	v_mul_lo_u32 v15, s50, v3
	v_mul_hi_u32 v16, s50, v3
	v_mul_lo_u32 v0, s51, v0
	;; [unrolled: 2-line block ×3, first 2 shown]
	v_add_co_u32 v7, vcc_lo, v7, v15
	v_add_co_ci_u32_e32 v15, vcc_lo, 0, v16, vcc_lo
	s_delay_alu instid0(VALU_DEP_2) | instskip(NEXT) | instid1(VALU_DEP_2)
	v_add_co_u32 v0, vcc_lo, v7, v0
	v_add_co_ci_u32_e32 v0, vcc_lo, v15, v17, vcc_lo
	v_add_co_ci_u32_e32 v7, vcc_lo, 0, v18, vcc_lo
	s_delay_alu instid0(VALU_DEP_2) | instskip(NEXT) | instid1(VALU_DEP_2)
	v_add_co_u32 v0, vcc_lo, v0, v3
	v_add_co_ci_u32_e32 v3, vcc_lo, 0, v7, vcc_lo
	s_delay_alu instid0(VALU_DEP_2) | instskip(SKIP_1) | instid1(VALU_DEP_3)
	v_mul_hi_u32 v7, s30, v0
	v_mul_lo_u32 v15, s31, v0
	v_mul_lo_u32 v3, s30, v3
	v_add_co_u32 v16, s4, v0, 1
	s_delay_alu instid0(VALU_DEP_2) | instskip(SKIP_1) | instid1(VALU_DEP_2)
	v_add_nc_u32_e32 v3, v7, v3
	v_mul_lo_u32 v7, s30, v0
	v_add_nc_u32_e32 v3, v3, v15
	s_delay_alu instid0(VALU_DEP_2) | instskip(NEXT) | instid1(VALU_DEP_2)
	v_sub_co_u32 v7, vcc_lo, s50, v7
	v_sub_nc_u32_e32 v15, s51, v3
	s_delay_alu instid0(VALU_DEP_1) | instskip(NEXT) | instid1(VALU_DEP_3)
	v_subrev_co_ci_u32_e64 v15, s4, s31, v15, vcc_lo
	v_sub_co_u32 v17, s4, v7, s30
	v_sub_co_ci_u32_e32 v3, vcc_lo, s51, v3, vcc_lo
	s_delay_alu instid0(VALU_DEP_3) | instskip(NEXT) | instid1(VALU_DEP_3)
	v_subrev_co_ci_u32_e64 v15, s4, 0, v15, s4
	v_cmp_le_u32_e32 vcc_lo, s30, v17
	v_cndmask_b32_e64 v17, 0, -1, vcc_lo
	s_delay_alu instid0(VALU_DEP_3)
	v_cmp_le_u32_e32 vcc_lo, s31, v15
	v_cndmask_b32_e64 v18, 0, -1, vcc_lo
	v_cmp_le_u32_e32 vcc_lo, s30, v7
	v_cndmask_b32_e64 v7, 0, -1, vcc_lo
	;; [unrolled: 2-line block ×3, first 2 shown]
	v_cmp_eq_u32_e32 vcc_lo, s31, v15
	v_cndmask_b32_e32 v15, v18, v17, vcc_lo
	v_add_co_u32 v17, vcc_lo, v0, 2
	v_cmp_eq_u32_e32 vcc_lo, s31, v3
	v_cndmask_b32_e32 v3, v19, v7, vcc_lo
	s_delay_alu instid0(VALU_DEP_4) | instskip(NEXT) | instid1(VALU_DEP_4)
	v_cmp_ne_u32_e32 vcc_lo, 0, v15
	v_cndmask_b32_e32 v7, v16, v17, vcc_lo
	s_delay_alu instid0(VALU_DEP_3) | instskip(NEXT) | instid1(VALU_DEP_2)
	v_cmp_ne_u32_e32 vcc_lo, 0, v3
	v_cndmask_b32_e32 v0, v0, v7, vcc_lo
	s_delay_alu instid0(VALU_DEP_1) | instskip(NEXT) | instid1(VALU_DEP_1)
	v_xor_b32_e32 v0, s28, v0
	v_sub_co_u32 v15, vcc_lo, v0, s28
	v_cvt_f32_u32_e32 v0, s12
	s_cbranch_execnz .LBB11_45
.LBB11_44:                              ;   in Loop: Header=BB11_42 Depth=3
	s_delay_alu instid0(VALU_DEP_1) | instskip(SKIP_3) | instid1(VALU_DEP_1)
	v_rcp_iflag_f32_e32 v3, v0
	s_sub_i32 s4, 0, s12
	s_waitcnt_depctr 0xfff
	v_mul_f32_e32 v3, 0x4f7ffffe, v3
	v_cvt_u32_f32_e32 v3, v3
	s_delay_alu instid0(VALU_DEP_1) | instskip(NEXT) | instid1(VALU_DEP_1)
	v_mul_lo_u32 v7, s4, v3
	v_mul_hi_u32 v7, v3, v7
	s_delay_alu instid0(VALU_DEP_1) | instskip(NEXT) | instid1(VALU_DEP_1)
	v_add_nc_u32_e32 v3, v3, v7
	v_mul_hi_u32 v3, s26, v3
	s_delay_alu instid0(VALU_DEP_1) | instskip(SKIP_1) | instid1(VALU_DEP_2)
	v_mul_lo_u32 v7, v3, s12
	v_add_nc_u32_e32 v15, 1, v3
	v_sub_nc_u32_e32 v7, s26, v7
	s_delay_alu instid0(VALU_DEP_1) | instskip(SKIP_1) | instid1(VALU_DEP_2)
	v_subrev_nc_u32_e32 v16, s12, v7
	v_cmp_le_u32_e32 vcc_lo, s12, v7
	v_cndmask_b32_e32 v7, v7, v16, vcc_lo
	v_cndmask_b32_e32 v3, v3, v15, vcc_lo
	s_delay_alu instid0(VALU_DEP_2) | instskip(NEXT) | instid1(VALU_DEP_2)
	v_cmp_le_u32_e32 vcc_lo, s12, v7
	v_add_nc_u32_e32 v15, 1, v3
	s_delay_alu instid0(VALU_DEP_1)
	v_cndmask_b32_e32 v15, v3, v15, vcc_lo
.LBB11_45:                              ;   in Loop: Header=BB11_42 Depth=3
	s_or_b64 s[26:27], s[24:25], s[12:13]
	s_delay_alu instid0(SALU_CYCLE_1) | instskip(NEXT) | instid1(SALU_CYCLE_1)
	s_mov_b32 s21, s27
	s_cmp_lg_u64 s[20:21], 0
	s_cbranch_scc0 .LBB11_82
; %bb.46:                               ;   in Loop: Header=BB11_42 Depth=3
	s_add_u32 s28, s12, s13
	s_mov_b32 s26, s13
	s_mov_b32 s27, s13
	s_addc_u32 s29, s13, s13
	s_delay_alu instid0(SALU_CYCLE_1) | instskip(NEXT) | instid1(SALU_CYCLE_1)
	s_xor_b64 s[28:29], s[28:29], s[26:27]
	v_cvt_f32_u32_e32 v3, s28
	v_cvt_f32_u32_e32 v7, s29
	s_sub_u32 s30, 0, s28
	s_subb_u32 s31, 0, s29
	s_delay_alu instid0(VALU_DEP_1) | instskip(NEXT) | instid1(VALU_DEP_1)
	v_fmac_f32_e32 v3, 0x4f800000, v7
	v_rcp_f32_e32 v3, v3
	s_waitcnt_depctr 0xfff
	v_mul_f32_e32 v3, 0x5f7ffffc, v3
	s_delay_alu instid0(VALU_DEP_1) | instskip(NEXT) | instid1(VALU_DEP_1)
	v_mul_f32_e32 v7, 0x2f800000, v3
	v_trunc_f32_e32 v7, v7
	s_delay_alu instid0(VALU_DEP_1) | instskip(SKIP_1) | instid1(VALU_DEP_2)
	v_fmac_f32_e32 v3, 0xcf800000, v7
	v_cvt_u32_f32_e32 v7, v7
	v_cvt_u32_f32_e32 v3, v3
	s_delay_alu instid0(VALU_DEP_2) | instskip(NEXT) | instid1(VALU_DEP_2)
	v_readfirstlane_b32 s4, v7
	v_readfirstlane_b32 s21, v3
	s_delay_alu instid0(VALU_DEP_2) | instskip(NEXT) | instid1(VALU_DEP_1)
	s_mul_i32 s34, s30, s4
	s_mul_hi_u32 s50, s30, s21
	s_mul_i32 s35, s31, s21
	s_add_i32 s34, s50, s34
	s_mul_i32 s51, s30, s21
	s_add_i32 s34, s34, s35
	s_mul_hi_u32 s50, s21, s51
	s_mul_hi_u32 s52, s4, s51
	s_mul_i32 s35, s4, s51
	s_mul_hi_u32 s51, s21, s34
	s_mul_i32 s21, s21, s34
	s_mul_hi_u32 s53, s4, s34
	s_add_u32 s21, s50, s21
	s_addc_u32 s50, 0, s51
	s_add_u32 s21, s21, s35
	s_mul_i32 s34, s4, s34
	s_addc_u32 s21, s50, s52
	s_addc_u32 s35, s53, 0
	s_add_u32 s21, s21, s34
	s_addc_u32 s34, 0, s35
	v_add_co_u32 v3, s21, v3, s21
	s_delay_alu instid0(VALU_DEP_1) | instskip(SKIP_1) | instid1(VALU_DEP_1)
	s_cmp_lg_u32 s21, 0
	s_addc_u32 s4, s4, s34
	v_readfirstlane_b32 s21, v3
	s_mul_i32 s34, s30, s4
	s_delay_alu instid0(VALU_DEP_1)
	s_mul_hi_u32 s35, s30, s21
	s_mul_i32 s31, s31, s21
	s_add_i32 s34, s35, s34
	s_mul_i32 s30, s30, s21
	s_add_i32 s34, s34, s31
	s_mul_hi_u32 s35, s4, s30
	s_mul_i32 s50, s4, s30
	s_mul_hi_u32 s30, s21, s30
	s_mul_hi_u32 s51, s21, s34
	s_mul_i32 s21, s21, s34
	s_mul_hi_u32 s31, s4, s34
	s_add_u32 s21, s30, s21
	s_addc_u32 s30, 0, s51
	s_add_u32 s21, s21, s50
	s_mul_i32 s34, s4, s34
	s_addc_u32 s21, s30, s35
	s_addc_u32 s30, s31, 0
	s_add_u32 s21, s21, s34
	s_addc_u32 s30, 0, s30
	v_add_co_u32 v3, s21, v3, s21
	s_delay_alu instid0(VALU_DEP_1) | instskip(SKIP_2) | instid1(VALU_DEP_1)
	s_cmp_lg_u32 s21, 0
	s_addc_u32 s4, s4, s30
	s_ashr_i32 s30, s25, 31
	v_readfirstlane_b32 s21, v3
	s_add_u32 s34, s24, s30
	s_mov_b32 s31, s30
	s_addc_u32 s35, s25, s30
	s_delay_alu instid0(SALU_CYCLE_1) | instskip(NEXT) | instid1(SALU_CYCLE_1)
	s_xor_b64 s[34:35], s[34:35], s[30:31]
	s_mul_i32 s51, s34, s4
	s_mul_hi_u32 s52, s34, s21
	s_mul_hi_u32 s50, s34, s4
	;; [unrolled: 1-line block ×3, first 2 shown]
	s_mul_i32 s21, s35, s21
	s_add_u32 s51, s52, s51
	s_addc_u32 s50, 0, s50
	s_mul_hi_u32 s53, s35, s4
	s_add_u32 s21, s51, s21
	s_mul_i32 s4, s35, s4
	s_addc_u32 s21, s50, s54
	s_addc_u32 s50, s53, 0
	s_add_u32 s4, s21, s4
	s_addc_u32 s21, 0, s50
	s_mul_i32 s53, s28, s4
	s_mul_hi_u32 s50, s28, s4
	s_mul_i32 s52, s28, s21
	v_sub_co_u32 v3, s34, s34, s53
	s_mul_i32 s51, s29, s4
	s_add_i32 s50, s50, s52
	s_delay_alu instid0(SALU_CYCLE_1) | instskip(NEXT) | instid1(VALU_DEP_1)
	s_add_i32 s50, s50, s51
	v_sub_co_u32 v7, s52, v3, s28
	s_sub_i32 s51, s35, s50
	s_cmp_lg_u32 s34, 0
	s_subb_u32 s51, s51, s29
	s_cmp_lg_u32 s52, 0
	v_readfirstlane_b32 s52, v7
	s_subb_u32 s51, s51, 0
	s_delay_alu instid0(SALU_CYCLE_1) | instskip(SKIP_1) | instid1(VALU_DEP_1)
	s_cmp_ge_u32 s51, s29
	s_cselect_b32 s53, -1, 0
	s_cmp_ge_u32 s52, s28
	s_cselect_b32 s52, -1, 0
	s_cmp_eq_u32 s51, s29
	s_cselect_b32 s51, s52, s53
	s_add_u32 s52, s4, 1
	s_addc_u32 s53, s21, 0
	s_add_u32 s54, s4, 2
	s_addc_u32 s55, s21, 0
	s_cmp_lg_u32 s51, 0
	s_cselect_b32 s51, s54, s52
	s_cselect_b32 s52, s55, s53
	s_cmp_lg_u32 s34, 0
	v_readfirstlane_b32 s34, v3
	s_subb_u32 s35, s35, s50
	s_delay_alu instid0(SALU_CYCLE_1) | instskip(SKIP_1) | instid1(VALU_DEP_1)
	s_cmp_ge_u32 s35, s29
	s_cselect_b32 s50, -1, 0
	s_cmp_ge_u32 s34, s28
	s_cselect_b32 s28, -1, 0
	s_cmp_eq_u32 s35, s29
	s_cselect_b32 s28, s28, s50
	s_delay_alu instid0(SALU_CYCLE_1) | instskip(SKIP_3) | instid1(SALU_CYCLE_1)
	s_cmp_lg_u32 s28, 0
	s_cselect_b32 s29, s52, s21
	s_cselect_b32 s28, s51, s4
	s_xor_b64 s[26:27], s[30:31], s[26:27]
	s_xor_b64 s[28:29], s[28:29], s[26:27]
	s_delay_alu instid0(SALU_CYCLE_1)
	s_sub_u32 s26, s28, s26
	s_subb_u32 s27, s29, s27
	s_cbranch_execnz .LBB11_48
.LBB11_47:                              ;   in Loop: Header=BB11_42 Depth=3
	v_rcp_iflag_f32_e32 v3, v0
	s_sub_i32 s21, 0, s12
	s_waitcnt_depctr 0xfff
	v_mul_f32_e32 v3, 0x4f7ffffe, v3
	s_delay_alu instid0(VALU_DEP_1) | instskip(NEXT) | instid1(VALU_DEP_1)
	v_cvt_u32_f32_e32 v3, v3
	v_readfirstlane_b32 s4, v3
	s_delay_alu instid0(VALU_DEP_1) | instskip(NEXT) | instid1(SALU_CYCLE_1)
	s_mul_i32 s21, s21, s4
	s_mul_hi_u32 s21, s4, s21
	s_delay_alu instid0(SALU_CYCLE_1) | instskip(NEXT) | instid1(SALU_CYCLE_1)
	s_add_i32 s4, s4, s21
	s_mul_hi_u32 s4, s24, s4
	s_delay_alu instid0(SALU_CYCLE_1) | instskip(SKIP_2) | instid1(SALU_CYCLE_1)
	s_mul_i32 s21, s4, s12
	s_add_i32 s26, s4, 1
	s_sub_i32 s21, s24, s21
	s_sub_i32 s27, s21, s12
	s_cmp_ge_u32 s21, s12
	s_cselect_b32 s4, s26, s4
	s_cselect_b32 s21, s27, s21
	s_add_i32 s26, s4, 1
	s_cmp_ge_u32 s21, s12
	s_mov_b32 s27, s20
	s_cselect_b32 s26, s26, s4
.LBB11_48:                              ;   in Loop: Header=BB11_42 Depth=3
	s_delay_alu instid0(SALU_CYCLE_1) | instskip(SKIP_1) | instid1(SALU_CYCLE_1)
	s_mul_i32 s4, s26, s13
	s_mul_hi_u32 s21, s26, s12
	s_add_i32 s4, s21, s4
	s_mul_i32 s21, s27, s12
	s_mul_i32 s27, s26, s12
	s_add_i32 s4, s4, s21
	s_sub_u32 s21, s24, s27
	s_subb_u32 s4, s25, s4
	s_mul_i32 s27, s21, s11
	s_mul_hi_u32 s28, s21, s10
	s_mul_i32 s4, s4, s10
	s_add_i32 s25, s28, s27
	s_mul_i32 s28, s21, s10
	s_add_i32 s29, s25, s4
	s_delay_alu instid0(SALU_CYCLE_1) | instskip(NEXT) | instid1(SALU_CYCLE_1)
	s_or_b64 s[30:31], s[28:29], s[12:13]
	s_mov_b32 s21, s31
	s_delay_alu instid0(SALU_CYCLE_1)
	s_cmp_lg_u64 s[20:21], 0
	s_cbranch_scc0 .LBB11_83
; %bb.49:                               ;   in Loop: Header=BB11_42 Depth=3
	s_add_u32 s34, s12, s13
	s_mov_b32 s30, s13
	s_mov_b32 s31, s13
	s_addc_u32 s35, s13, s13
	s_delay_alu instid0(SALU_CYCLE_1) | instskip(NEXT) | instid1(SALU_CYCLE_1)
	s_xor_b64 s[34:35], s[34:35], s[30:31]
	v_cvt_f32_u32_e32 v3, s34
	v_cvt_f32_u32_e32 v7, s35
	s_sub_u32 s4, 0, s34
	s_subb_u32 s21, 0, s35
	s_ashr_i32 s50, s29, 31
	s_delay_alu instid0(VALU_DEP_1)
	v_fmac_f32_e32 v3, 0x4f800000, v7
	s_add_u32 s52, s28, s50
	s_mov_b32 s51, s50
	s_addc_u32 s53, s29, s50
	s_xor_b64 s[30:31], s[50:51], s[30:31]
	v_rcp_f32_e32 v3, v3
	s_xor_b64 s[52:53], s[52:53], s[50:51]
	s_waitcnt_depctr 0xfff
	v_mul_f32_e32 v3, 0x5f7ffffc, v3
	s_delay_alu instid0(VALU_DEP_1) | instskip(NEXT) | instid1(VALU_DEP_1)
	v_mul_f32_e32 v7, 0x2f800000, v3
	v_trunc_f32_e32 v7, v7
	s_delay_alu instid0(VALU_DEP_1) | instskip(SKIP_1) | instid1(VALU_DEP_2)
	v_fmac_f32_e32 v3, 0xcf800000, v7
	v_cvt_u32_f32_e32 v7, v7
	v_cvt_u32_f32_e32 v3, v3
	s_delay_alu instid0(VALU_DEP_2) | instskip(NEXT) | instid1(VALU_DEP_2)
	v_mul_lo_u32 v16, s4, v7
	v_mul_hi_u32 v17, s4, v3
	v_mul_lo_u32 v18, s21, v3
	s_delay_alu instid0(VALU_DEP_2) | instskip(SKIP_1) | instid1(VALU_DEP_2)
	v_add_nc_u32_e32 v16, v17, v16
	v_mul_lo_u32 v17, s4, v3
	v_add_nc_u32_e32 v16, v16, v18
	s_delay_alu instid0(VALU_DEP_2) | instskip(NEXT) | instid1(VALU_DEP_2)
	v_mul_hi_u32 v18, v3, v17
	v_mul_lo_u32 v19, v3, v16
	v_mul_hi_u32 v20, v3, v16
	v_mul_hi_u32 v21, v7, v17
	v_mul_lo_u32 v17, v7, v17
	v_mul_hi_u32 v22, v7, v16
	v_mul_lo_u32 v16, v7, v16
	v_add_co_u32 v18, vcc_lo, v18, v19
	v_add_co_ci_u32_e32 v19, vcc_lo, 0, v20, vcc_lo
	s_delay_alu instid0(VALU_DEP_2) | instskip(NEXT) | instid1(VALU_DEP_2)
	v_add_co_u32 v17, vcc_lo, v18, v17
	v_add_co_ci_u32_e32 v17, vcc_lo, v19, v21, vcc_lo
	v_add_co_ci_u32_e32 v18, vcc_lo, 0, v22, vcc_lo
	s_delay_alu instid0(VALU_DEP_2) | instskip(NEXT) | instid1(VALU_DEP_2)
	v_add_co_u32 v16, vcc_lo, v17, v16
	v_add_co_ci_u32_e32 v17, vcc_lo, 0, v18, vcc_lo
	s_delay_alu instid0(VALU_DEP_2) | instskip(NEXT) | instid1(VALU_DEP_2)
	v_add_co_u32 v3, vcc_lo, v3, v16
	v_add_co_ci_u32_e32 v7, vcc_lo, v7, v17, vcc_lo
	s_delay_alu instid0(VALU_DEP_2) | instskip(SKIP_1) | instid1(VALU_DEP_3)
	v_mul_hi_u32 v16, s4, v3
	v_mul_lo_u32 v18, s21, v3
	v_mul_lo_u32 v17, s4, v7
	s_delay_alu instid0(VALU_DEP_1) | instskip(SKIP_1) | instid1(VALU_DEP_2)
	v_add_nc_u32_e32 v16, v16, v17
	v_mul_lo_u32 v17, s4, v3
	v_add_nc_u32_e32 v16, v16, v18
	s_delay_alu instid0(VALU_DEP_2) | instskip(NEXT) | instid1(VALU_DEP_2)
	v_mul_hi_u32 v18, v3, v17
	v_mul_lo_u32 v19, v3, v16
	v_mul_hi_u32 v20, v3, v16
	v_mul_hi_u32 v21, v7, v17
	v_mul_lo_u32 v17, v7, v17
	v_mul_hi_u32 v22, v7, v16
	v_mul_lo_u32 v16, v7, v16
	v_add_co_u32 v18, vcc_lo, v18, v19
	v_add_co_ci_u32_e32 v19, vcc_lo, 0, v20, vcc_lo
	s_delay_alu instid0(VALU_DEP_2) | instskip(NEXT) | instid1(VALU_DEP_2)
	v_add_co_u32 v17, vcc_lo, v18, v17
	v_add_co_ci_u32_e32 v17, vcc_lo, v19, v21, vcc_lo
	v_add_co_ci_u32_e32 v18, vcc_lo, 0, v22, vcc_lo
	s_delay_alu instid0(VALU_DEP_2) | instskip(NEXT) | instid1(VALU_DEP_2)
	v_add_co_u32 v16, vcc_lo, v17, v16
	v_add_co_ci_u32_e32 v17, vcc_lo, 0, v18, vcc_lo
	s_delay_alu instid0(VALU_DEP_2) | instskip(NEXT) | instid1(VALU_DEP_2)
	v_add_co_u32 v3, vcc_lo, v3, v16
	v_add_co_ci_u32_e32 v7, vcc_lo, v7, v17, vcc_lo
	s_delay_alu instid0(VALU_DEP_2) | instskip(SKIP_1) | instid1(VALU_DEP_3)
	v_mul_hi_u32 v16, s52, v3
	v_mul_hi_u32 v19, s53, v3
	v_mul_lo_u32 v17, s52, v7
	v_mul_hi_u32 v18, s52, v7
	v_mul_lo_u32 v3, s53, v3
	;; [unrolled: 2-line block ×3, first 2 shown]
	v_add_co_u32 v16, vcc_lo, v16, v17
	v_add_co_ci_u32_e32 v17, vcc_lo, 0, v18, vcc_lo
	s_delay_alu instid0(VALU_DEP_2) | instskip(NEXT) | instid1(VALU_DEP_2)
	v_add_co_u32 v3, vcc_lo, v16, v3
	v_add_co_ci_u32_e32 v3, vcc_lo, v17, v19, vcc_lo
	v_add_co_ci_u32_e32 v16, vcc_lo, 0, v20, vcc_lo
	s_delay_alu instid0(VALU_DEP_2) | instskip(NEXT) | instid1(VALU_DEP_2)
	v_add_co_u32 v3, vcc_lo, v3, v7
	v_add_co_ci_u32_e32 v7, vcc_lo, 0, v16, vcc_lo
	s_delay_alu instid0(VALU_DEP_2) | instskip(SKIP_1) | instid1(VALU_DEP_3)
	v_mul_hi_u32 v16, s34, v3
	v_mul_lo_u32 v17, s35, v3
	v_mul_lo_u32 v7, s34, v7
	v_add_co_u32 v18, s4, v3, 1
	s_delay_alu instid0(VALU_DEP_2) | instskip(SKIP_1) | instid1(VALU_DEP_2)
	v_add_nc_u32_e32 v7, v16, v7
	v_mul_lo_u32 v16, s34, v3
	v_add_nc_u32_e32 v7, v7, v17
	s_delay_alu instid0(VALU_DEP_2) | instskip(NEXT) | instid1(VALU_DEP_2)
	v_sub_co_u32 v16, vcc_lo, s52, v16
	v_sub_nc_u32_e32 v17, s53, v7
	s_delay_alu instid0(VALU_DEP_1) | instskip(NEXT) | instid1(VALU_DEP_3)
	v_subrev_co_ci_u32_e64 v17, s4, s35, v17, vcc_lo
	v_sub_co_u32 v19, s4, v16, s34
	v_sub_co_ci_u32_e32 v7, vcc_lo, s53, v7, vcc_lo
	s_delay_alu instid0(VALU_DEP_3) | instskip(NEXT) | instid1(VALU_DEP_3)
	v_subrev_co_ci_u32_e64 v17, s4, 0, v17, s4
	v_cmp_le_u32_e32 vcc_lo, s34, v19
	v_cndmask_b32_e64 v19, 0, -1, vcc_lo
	s_delay_alu instid0(VALU_DEP_3)
	v_cmp_le_u32_e32 vcc_lo, s35, v17
	v_cndmask_b32_e64 v20, 0, -1, vcc_lo
	v_cmp_le_u32_e32 vcc_lo, s34, v16
	v_cndmask_b32_e64 v16, 0, -1, vcc_lo
	v_cmp_le_u32_e32 vcc_lo, s35, v7
	v_cndmask_b32_e64 v21, 0, -1, vcc_lo
	v_cmp_eq_u32_e32 vcc_lo, s35, v17
	v_cndmask_b32_e32 v17, v20, v19, vcc_lo
	v_add_co_u32 v19, vcc_lo, v3, 2
	v_cmp_eq_u32_e32 vcc_lo, s35, v7
	v_cndmask_b32_e32 v7, v21, v16, vcc_lo
	s_delay_alu instid0(VALU_DEP_4) | instskip(NEXT) | instid1(VALU_DEP_4)
	v_cmp_ne_u32_e32 vcc_lo, 0, v17
	v_cndmask_b32_e32 v16, v18, v19, vcc_lo
	s_delay_alu instid0(VALU_DEP_3) | instskip(NEXT) | instid1(VALU_DEP_2)
	v_cmp_ne_u32_e32 vcc_lo, 0, v7
	v_cndmask_b32_e32 v3, v3, v16, vcc_lo
	s_delay_alu instid0(VALU_DEP_1) | instskip(NEXT) | instid1(VALU_DEP_1)
	v_xor_b32_e32 v3, s30, v3
	v_sub_co_u32 v16, vcc_lo, v3, s30
	s_cbranch_execnz .LBB11_51
.LBB11_50:                              ;   in Loop: Header=BB11_42 Depth=3
	v_rcp_iflag_f32_e32 v0, v0
	s_sub_i32 s4, 0, s12
	s_waitcnt_depctr 0xfff
	v_mul_f32_e32 v0, 0x4f7ffffe, v0
	s_delay_alu instid0(VALU_DEP_1) | instskip(NEXT) | instid1(VALU_DEP_1)
	v_cvt_u32_f32_e32 v0, v0
	v_mul_lo_u32 v3, s4, v0
	s_delay_alu instid0(VALU_DEP_1) | instskip(NEXT) | instid1(VALU_DEP_1)
	v_mul_hi_u32 v3, v0, v3
	v_add_nc_u32_e32 v0, v0, v3
	s_delay_alu instid0(VALU_DEP_1) | instskip(NEXT) | instid1(VALU_DEP_1)
	v_mul_hi_u32 v0, s28, v0
	v_mul_lo_u32 v3, v0, s12
	v_add_nc_u32_e32 v7, 1, v0
	s_delay_alu instid0(VALU_DEP_2) | instskip(NEXT) | instid1(VALU_DEP_1)
	v_sub_nc_u32_e32 v3, s28, v3
	v_subrev_nc_u32_e32 v16, s12, v3
	v_cmp_le_u32_e32 vcc_lo, s12, v3
	s_delay_alu instid0(VALU_DEP_2) | instskip(NEXT) | instid1(VALU_DEP_1)
	v_dual_cndmask_b32 v3, v3, v16 :: v_dual_cndmask_b32 v0, v0, v7
	v_cmp_le_u32_e32 vcc_lo, s12, v3
	s_delay_alu instid0(VALU_DEP_2) | instskip(NEXT) | instid1(VALU_DEP_1)
	v_add_nc_u32_e32 v7, 1, v0
	v_cndmask_b32_e32 v16, v0, v7, vcc_lo
.LBB11_51:                              ;   in Loop: Header=BB11_42 Depth=3
	s_and_saveexec_b32 s21, s2
	s_cbranch_execz .LBB11_41
; %bb.52:                               ;   in Loop: Header=BB11_42 Depth=3
	s_mul_i32 s4, s26, s10
	s_mov_b32 s25, 0
	v_dual_mov_b32 v7, v4 :: v_dual_add_nc_u32 v0, s4, v16
	s_delay_alu instid0(VALU_DEP_1) | instskip(NEXT) | instid1(VALU_DEP_1)
	v_sub_nc_u32_e32 v0, v15, v0
	v_dual_mov_b32 v15, v12 :: v_dual_add_nc_u32 v0, 1, v0
	s_branch .LBB11_54
.LBB11_53:                              ;   in Loop: Header=BB11_54 Depth=4
	s_or_b32 exec_lo, exec_lo, s30
	v_add_nc_u32_e32 v7, 1, v7
	v_add_nc_u32_e32 v15, s9, v15
	s_delay_alu instid0(VALU_DEP_2) | instskip(SKIP_1) | instid1(SALU_CYCLE_1)
	v_cmp_ge_i32_e32 vcc_lo, v7, v33
	s_or_b32 s25, vcc_lo, s25
	s_and_not1_b32 exec_lo, exec_lo, s25
	s_cbranch_execz .LBB11_41
.LBB11_54:                              ;   Parent Loop BB11_12 Depth=1
                                        ;     Parent Loop BB11_27 Depth=2
                                        ;       Parent Loop BB11_42 Depth=3
                                        ; =>      This Loop Header: Depth=4
                                        ;           Child Loop BB11_69 Depth 5
	s_and_saveexec_b32 s30, s3
	s_cbranch_execz .LBB11_53
; %bb.55:                               ;   in Loop: Header=BB11_54 Depth=4
	v_ashrrev_i32_e32 v16, 31, v7
	v_add_co_u32 v3, vcc_lo, v7, 1
	s_mov_b32 s4, exec_lo
	s_delay_alu instid0(VALU_DEP_2) | instskip(NEXT) | instid1(VALU_DEP_2)
	v_add_co_ci_u32_e32 v17, vcc_lo, 0, v16, vcc_lo
	v_mul_lo_u32 v18, v3, s17
	v_mad_u64_u32 v[19:20], null, v3, s37, -1
	s_delay_alu instid0(VALU_DEP_3) | instskip(NEXT) | instid1(VALU_DEP_1)
	v_mul_lo_u32 v17, v17, s37
	v_add3_u32 v20, v17, v20, v18
                                        ; implicit-def: $vgpr17_vgpr18
	s_delay_alu instid0(VALU_DEP_1) | instskip(NEXT) | instid1(VALU_DEP_1)
	v_or_b32_e32 v3, s45, v20
	v_cmpx_ne_u64_e32 0, v[2:3]
	s_xor_b32 s31, exec_lo, s4
	s_cbranch_execz .LBB11_57
; %bb.56:                               ;   in Loop: Header=BB11_54 Depth=4
	s_add_u32 s28, s41, s45
	s_mov_b32 s26, s45
	s_mov_b32 s27, s45
	s_addc_u32 s29, s45, s45
	s_delay_alu instid0(SALU_CYCLE_1) | instskip(NEXT) | instid1(SALU_CYCLE_1)
	s_xor_b64 s[28:29], s[28:29], s[26:27]
	v_cvt_f32_u32_e32 v3, s28
	v_cvt_f32_u32_e32 v17, s29
	s_sub_u32 s4, 0, s28
	s_subb_u32 s27, 0, s29
	s_delay_alu instid0(VALU_DEP_1) | instskip(NEXT) | instid1(VALU_DEP_1)
	v_fmac_f32_e32 v3, 0x4f800000, v17
	v_rcp_f32_e32 v3, v3
	s_waitcnt_depctr 0xfff
	v_mul_f32_e32 v3, 0x5f7ffffc, v3
	s_delay_alu instid0(VALU_DEP_1) | instskip(NEXT) | instid1(VALU_DEP_1)
	v_mul_f32_e32 v17, 0x2f800000, v3
	v_trunc_f32_e32 v17, v17
	s_delay_alu instid0(VALU_DEP_1) | instskip(SKIP_1) | instid1(VALU_DEP_2)
	v_fmac_f32_e32 v3, 0xcf800000, v17
	v_cvt_u32_f32_e32 v17, v17
	v_cvt_u32_f32_e32 v3, v3
	s_delay_alu instid0(VALU_DEP_2) | instskip(NEXT) | instid1(VALU_DEP_2)
	v_mul_lo_u32 v18, s4, v17
	v_mul_hi_u32 v21, s4, v3
	v_mul_lo_u32 v22, s27, v3
	s_delay_alu instid0(VALU_DEP_2) | instskip(SKIP_1) | instid1(VALU_DEP_2)
	v_add_nc_u32_e32 v18, v21, v18
	v_mul_lo_u32 v21, s4, v3
	v_add_nc_u32_e32 v18, v18, v22
	s_delay_alu instid0(VALU_DEP_2) | instskip(NEXT) | instid1(VALU_DEP_2)
	v_mul_hi_u32 v22, v3, v21
	v_mul_lo_u32 v23, v3, v18
	v_mul_hi_u32 v24, v3, v18
	v_mul_hi_u32 v25, v17, v21
	v_mul_lo_u32 v21, v17, v21
	v_mul_hi_u32 v26, v17, v18
	v_mul_lo_u32 v18, v17, v18
	v_add_co_u32 v22, vcc_lo, v22, v23
	v_add_co_ci_u32_e32 v23, vcc_lo, 0, v24, vcc_lo
	s_delay_alu instid0(VALU_DEP_2) | instskip(NEXT) | instid1(VALU_DEP_2)
	v_add_co_u32 v21, vcc_lo, v22, v21
	v_add_co_ci_u32_e32 v21, vcc_lo, v23, v25, vcc_lo
	v_add_co_ci_u32_e32 v22, vcc_lo, 0, v26, vcc_lo
	v_ashrrev_i32_e32 v25, 31, v20
	s_delay_alu instid0(VALU_DEP_3) | instskip(NEXT) | instid1(VALU_DEP_3)
	v_add_co_u32 v18, vcc_lo, v21, v18
	v_add_co_ci_u32_e32 v21, vcc_lo, 0, v22, vcc_lo
	s_delay_alu instid0(VALU_DEP_2) | instskip(NEXT) | instid1(VALU_DEP_2)
	v_add_co_u32 v3, vcc_lo, v3, v18
	v_add_co_ci_u32_e32 v17, vcc_lo, v17, v21, vcc_lo
	s_delay_alu instid0(VALU_DEP_2) | instskip(SKIP_1) | instid1(VALU_DEP_3)
	v_mul_hi_u32 v18, s4, v3
	v_mul_lo_u32 v22, s27, v3
	v_mul_lo_u32 v21, s4, v17
	s_delay_alu instid0(VALU_DEP_1) | instskip(SKIP_1) | instid1(VALU_DEP_2)
	v_add_nc_u32_e32 v18, v18, v21
	v_mul_lo_u32 v21, s4, v3
	v_add_nc_u32_e32 v18, v18, v22
	s_delay_alu instid0(VALU_DEP_2) | instskip(NEXT) | instid1(VALU_DEP_2)
	v_mul_hi_u32 v22, v3, v21
	v_mul_lo_u32 v23, v3, v18
	v_mul_hi_u32 v24, v3, v18
	v_mul_hi_u32 v26, v17, v21
	v_mul_lo_u32 v21, v17, v21
	v_mul_hi_u32 v27, v17, v18
	v_mul_lo_u32 v18, v17, v18
	v_add_co_u32 v22, vcc_lo, v22, v23
	v_add_co_ci_u32_e32 v23, vcc_lo, 0, v24, vcc_lo
	s_delay_alu instid0(VALU_DEP_2) | instskip(NEXT) | instid1(VALU_DEP_2)
	v_add_co_u32 v21, vcc_lo, v22, v21
	v_add_co_ci_u32_e32 v21, vcc_lo, v23, v26, vcc_lo
	v_add_co_ci_u32_e32 v22, vcc_lo, 0, v27, vcc_lo
	v_add_co_u32 v19, vcc_lo, v19, v25
	v_add_co_ci_u32_e32 v20, vcc_lo, v20, v25, vcc_lo
	s_delay_alu instid0(VALU_DEP_4) | instskip(NEXT) | instid1(VALU_DEP_4)
	v_add_co_u32 v18, vcc_lo, v21, v18
	v_add_co_ci_u32_e32 v21, vcc_lo, 0, v22, vcc_lo
	s_delay_alu instid0(VALU_DEP_4) | instskip(NEXT) | instid1(VALU_DEP_3)
	v_xor_b32_e32 v23, v19, v25
	v_add_co_u32 v3, vcc_lo, v3, v18
	s_delay_alu instid0(VALU_DEP_3) | instskip(SKIP_1) | instid1(VALU_DEP_3)
	v_add_co_ci_u32_e32 v24, vcc_lo, v17, v21, vcc_lo
	v_xor_b32_e32 v26, v20, v25
	v_mul_hi_u32 v27, v23, v3
	s_delay_alu instid0(VALU_DEP_3) | instskip(NEXT) | instid1(VALU_DEP_3)
	v_mad_u64_u32 v[17:18], null, v23, v24, 0
	v_mad_u64_u32 v[19:20], null, v26, v3, 0
	;; [unrolled: 1-line block ×3, first 2 shown]
	s_delay_alu instid0(VALU_DEP_3) | instskip(NEXT) | instid1(VALU_DEP_4)
	v_add_co_u32 v3, vcc_lo, v27, v17
	v_add_co_ci_u32_e32 v17, vcc_lo, 0, v18, vcc_lo
	s_delay_alu instid0(VALU_DEP_2) | instskip(NEXT) | instid1(VALU_DEP_2)
	v_add_co_u32 v3, vcc_lo, v3, v19
	v_add_co_ci_u32_e32 v3, vcc_lo, v17, v20, vcc_lo
	v_add_co_ci_u32_e32 v17, vcc_lo, 0, v22, vcc_lo
	s_delay_alu instid0(VALU_DEP_2) | instskip(NEXT) | instid1(VALU_DEP_2)
	v_add_co_u32 v3, vcc_lo, v3, v21
	v_add_co_ci_u32_e32 v19, vcc_lo, 0, v17, vcc_lo
	s_delay_alu instid0(VALU_DEP_2) | instskip(SKIP_1) | instid1(VALU_DEP_3)
	v_mul_lo_u32 v20, s29, v3
	v_mad_u64_u32 v[17:18], null, s28, v3, 0
	v_mul_lo_u32 v19, s28, v19
	s_delay_alu instid0(VALU_DEP_2) | instskip(NEXT) | instid1(VALU_DEP_2)
	v_sub_co_u32 v17, vcc_lo, v23, v17
	v_add3_u32 v18, v18, v19, v20
	v_add_co_u32 v20, s4, v3, 2
	s_delay_alu instid0(VALU_DEP_2) | instskip(NEXT) | instid1(VALU_DEP_1)
	v_sub_nc_u32_e32 v19, v26, v18
	v_subrev_co_ci_u32_e64 v19, s4, s29, v19, vcc_lo
	v_sub_co_u32 v21, s4, v17, s28
	v_sub_co_ci_u32_e32 v18, vcc_lo, v26, v18, vcc_lo
	s_delay_alu instid0(VALU_DEP_3) | instskip(NEXT) | instid1(VALU_DEP_3)
	v_subrev_co_ci_u32_e64 v19, s4, 0, v19, s4
	v_cmp_le_u32_e32 vcc_lo, s28, v21
	v_cndmask_b32_e64 v21, 0, -1, vcc_lo
	s_delay_alu instid0(VALU_DEP_3)
	v_cmp_le_u32_e32 vcc_lo, s29, v19
	v_cndmask_b32_e64 v22, 0, -1, vcc_lo
	v_cmp_le_u32_e32 vcc_lo, s28, v17
	v_cndmask_b32_e64 v17, 0, -1, vcc_lo
	v_cmp_le_u32_e32 vcc_lo, s29, v18
	v_cndmask_b32_e64 v23, 0, -1, vcc_lo
	v_cmp_eq_u32_e32 vcc_lo, s29, v19
	v_cndmask_b32_e32 v19, v22, v21, vcc_lo
	v_add_co_u32 v21, vcc_lo, v3, 1
	v_cmp_eq_u32_e32 vcc_lo, s29, v18
	v_cndmask_b32_e32 v17, v23, v17, vcc_lo
	s_delay_alu instid0(VALU_DEP_4) | instskip(NEXT) | instid1(VALU_DEP_4)
	v_cmp_ne_u32_e32 vcc_lo, 0, v19
	v_cndmask_b32_e32 v18, v21, v20, vcc_lo
	s_delay_alu instid0(VALU_DEP_3) | instskip(SKIP_1) | instid1(VALU_DEP_3)
	v_cmp_ne_u32_e32 vcc_lo, 0, v17
	v_xor_b32_e32 v17, s26, v25
                                        ; implicit-def: $vgpr19_vgpr20
	v_cndmask_b32_e32 v3, v3, v18, vcc_lo
	s_delay_alu instid0(VALU_DEP_1) | instskip(NEXT) | instid1(VALU_DEP_1)
	v_xor_b32_e32 v3, v3, v17
	v_sub_co_u32 v17, vcc_lo, v3, v17
.LBB11_57:                              ;   in Loop: Header=BB11_54 Depth=4
	s_or_saveexec_b32 s4, s31
	v_cvt_f32_u32_e32 v3, s41
	s_delay_alu instid0(VALU_DEP_1)
	v_rcp_iflag_f32_e32 v23, v3
	s_xor_b32 exec_lo, exec_lo, s4
	s_cbranch_execz .LBB11_59
; %bb.58:                               ;   in Loop: Header=BB11_54 Depth=4
	s_waitcnt_depctr 0xfff
	v_mul_f32_e32 v3, 0x4f7ffffe, v23
	s_sub_i32 s26, 0, s41
	s_delay_alu instid0(VALU_DEP_1) | instskip(NEXT) | instid1(VALU_DEP_1)
	v_cvt_u32_f32_e32 v3, v3
	v_mul_lo_u32 v17, s26, v3
	s_delay_alu instid0(VALU_DEP_1) | instskip(NEXT) | instid1(VALU_DEP_1)
	v_mul_hi_u32 v17, v3, v17
	v_add_nc_u32_e32 v3, v3, v17
	s_delay_alu instid0(VALU_DEP_1) | instskip(NEXT) | instid1(VALU_DEP_1)
	v_mul_hi_u32 v3, v19, v3
	v_mul_lo_u32 v17, v3, s41
	v_add_nc_u32_e32 v18, 1, v3
	s_delay_alu instid0(VALU_DEP_2) | instskip(NEXT) | instid1(VALU_DEP_1)
	v_sub_nc_u32_e32 v17, v19, v17
	v_subrev_nc_u32_e32 v19, s41, v17
	v_cmp_le_u32_e32 vcc_lo, s41, v17
	s_delay_alu instid0(VALU_DEP_2) | instskip(SKIP_1) | instid1(VALU_DEP_2)
	v_cndmask_b32_e32 v17, v17, v19, vcc_lo
	v_cndmask_b32_e32 v3, v3, v18, vcc_lo
	v_cmp_le_u32_e32 vcc_lo, s41, v17
	s_delay_alu instid0(VALU_DEP_2) | instskip(NEXT) | instid1(VALU_DEP_1)
	v_add_nc_u32_e32 v18, 1, v3
	v_cndmask_b32_e32 v17, v3, v18, vcc_lo
.LBB11_59:                              ;   in Loop: Header=BB11_54 Depth=4
	s_or_b32 exec_lo, exec_lo, s4
	v_or_b32_e32 v3, s45, v16
                                        ; implicit-def: $vgpr18_vgpr19
	s_mov_b32 s4, exec_lo
	s_delay_alu instid0(VALU_DEP_1)
	v_cmpx_ne_u64_e32 0, v[2:3]
	s_xor_b32 s31, exec_lo, s4
	s_cbranch_execz .LBB11_61
; %bb.60:                               ;   in Loop: Header=BB11_54 Depth=4
	s_add_u32 s28, s41, s45
	s_mov_b32 s26, s45
	s_mov_b32 s27, s45
	s_addc_u32 s29, s45, s45
	s_delay_alu instid0(SALU_CYCLE_1) | instskip(NEXT) | instid1(SALU_CYCLE_1)
	s_xor_b64 s[28:29], s[28:29], s[26:27]
	v_cvt_f32_u32_e32 v3, s28
	v_cvt_f32_u32_e32 v18, s29
	s_sub_u32 s4, 0, s28
	s_subb_u32 s34, 0, s29
	s_delay_alu instid0(VALU_DEP_1) | instskip(NEXT) | instid1(VALU_DEP_1)
	v_fmac_f32_e32 v3, 0x4f800000, v18
	v_rcp_f32_e32 v3, v3
	s_waitcnt_depctr 0xfff
	v_mul_f32_e32 v3, 0x5f7ffffc, v3
	s_delay_alu instid0(VALU_DEP_1) | instskip(NEXT) | instid1(VALU_DEP_1)
	v_mul_f32_e32 v18, 0x2f800000, v3
	v_trunc_f32_e32 v18, v18
	s_delay_alu instid0(VALU_DEP_1) | instskip(SKIP_1) | instid1(VALU_DEP_2)
	v_fmac_f32_e32 v3, 0xcf800000, v18
	v_cvt_u32_f32_e32 v18, v18
	v_cvt_u32_f32_e32 v3, v3
	s_delay_alu instid0(VALU_DEP_2) | instskip(NEXT) | instid1(VALU_DEP_2)
	v_mul_lo_u32 v19, s4, v18
	v_mul_hi_u32 v20, s4, v3
	v_mul_lo_u32 v21, s34, v3
	s_delay_alu instid0(VALU_DEP_2) | instskip(SKIP_1) | instid1(VALU_DEP_2)
	v_add_nc_u32_e32 v19, v20, v19
	v_mul_lo_u32 v20, s4, v3
	v_add_nc_u32_e32 v19, v19, v21
	s_delay_alu instid0(VALU_DEP_2) | instskip(NEXT) | instid1(VALU_DEP_2)
	v_mul_hi_u32 v21, v3, v20
	v_mul_lo_u32 v22, v3, v19
	v_mul_hi_u32 v24, v3, v19
	v_mul_hi_u32 v25, v18, v20
	v_mul_lo_u32 v20, v18, v20
	v_mul_hi_u32 v26, v18, v19
	v_mul_lo_u32 v19, v18, v19
	v_add_co_u32 v21, vcc_lo, v21, v22
	v_add_co_ci_u32_e32 v22, vcc_lo, 0, v24, vcc_lo
	s_delay_alu instid0(VALU_DEP_2) | instskip(NEXT) | instid1(VALU_DEP_2)
	v_add_co_u32 v20, vcc_lo, v21, v20
	v_add_co_ci_u32_e32 v20, vcc_lo, v22, v25, vcc_lo
	v_add_co_ci_u32_e32 v21, vcc_lo, 0, v26, vcc_lo
	v_ashrrev_i32_e32 v26, 31, v16
	s_delay_alu instid0(VALU_DEP_3) | instskip(NEXT) | instid1(VALU_DEP_3)
	v_add_co_u32 v19, vcc_lo, v20, v19
	v_add_co_ci_u32_e32 v20, vcc_lo, 0, v21, vcc_lo
	s_delay_alu instid0(VALU_DEP_2) | instskip(NEXT) | instid1(VALU_DEP_2)
	v_add_co_u32 v3, vcc_lo, v3, v19
	v_add_co_ci_u32_e32 v18, vcc_lo, v18, v20, vcc_lo
	s_delay_alu instid0(VALU_DEP_2) | instskip(SKIP_1) | instid1(VALU_DEP_3)
	v_mul_hi_u32 v19, s4, v3
	v_mul_lo_u32 v21, s34, v3
	v_mul_lo_u32 v20, s4, v18
	s_delay_alu instid0(VALU_DEP_1) | instskip(SKIP_1) | instid1(VALU_DEP_2)
	v_add_nc_u32_e32 v19, v19, v20
	v_mul_lo_u32 v20, s4, v3
	v_add_nc_u32_e32 v19, v19, v21
	s_delay_alu instid0(VALU_DEP_2) | instskip(NEXT) | instid1(VALU_DEP_2)
	v_mul_hi_u32 v21, v3, v20
	v_mul_lo_u32 v22, v3, v19
	v_mul_hi_u32 v24, v3, v19
	v_mul_hi_u32 v25, v18, v20
	v_mul_lo_u32 v20, v18, v20
	v_mul_hi_u32 v27, v18, v19
	v_mul_lo_u32 v19, v18, v19
	v_add_co_u32 v21, vcc_lo, v21, v22
	v_add_co_ci_u32_e32 v22, vcc_lo, 0, v24, vcc_lo
	s_delay_alu instid0(VALU_DEP_2) | instskip(NEXT) | instid1(VALU_DEP_2)
	v_add_co_u32 v20, vcc_lo, v21, v20
	v_add_co_ci_u32_e32 v20, vcc_lo, v22, v25, vcc_lo
	v_add_co_ci_u32_e32 v21, vcc_lo, 0, v27, vcc_lo
	v_add_co_u32 v22, vcc_lo, v7, v26
	v_add_co_ci_u32_e32 v24, vcc_lo, v16, v26, vcc_lo
	s_delay_alu instid0(VALU_DEP_4) | instskip(NEXT) | instid1(VALU_DEP_4)
	v_add_co_u32 v19, vcc_lo, v20, v19
	v_add_co_ci_u32_e32 v20, vcc_lo, 0, v21, vcc_lo
	s_delay_alu instid0(VALU_DEP_4) | instskip(NEXT) | instid1(VALU_DEP_3)
	v_xor_b32_e32 v22, v22, v26
	v_add_co_u32 v3, vcc_lo, v3, v19
	s_delay_alu instid0(VALU_DEP_3) | instskip(SKIP_1) | instid1(VALU_DEP_3)
	v_add_co_ci_u32_e32 v27, vcc_lo, v18, v20, vcc_lo
	v_xor_b32_e32 v28, v24, v26
	v_mul_hi_u32 v37, v22, v3
	s_delay_alu instid0(VALU_DEP_3) | instskip(NEXT) | instid1(VALU_DEP_3)
	v_mad_u64_u32 v[18:19], null, v22, v27, 0
	v_mad_u64_u32 v[20:21], null, v28, v3, 0
	;; [unrolled: 1-line block ×3, first 2 shown]
	s_delay_alu instid0(VALU_DEP_3) | instskip(NEXT) | instid1(VALU_DEP_4)
	v_add_co_u32 v3, vcc_lo, v37, v18
	v_add_co_ci_u32_e32 v18, vcc_lo, 0, v19, vcc_lo
	s_delay_alu instid0(VALU_DEP_2) | instskip(NEXT) | instid1(VALU_DEP_2)
	v_add_co_u32 v3, vcc_lo, v3, v20
	v_add_co_ci_u32_e32 v3, vcc_lo, v18, v21, vcc_lo
	v_add_co_ci_u32_e32 v18, vcc_lo, 0, v25, vcc_lo
	s_delay_alu instid0(VALU_DEP_2) | instskip(NEXT) | instid1(VALU_DEP_2)
	v_add_co_u32 v3, vcc_lo, v3, v24
	v_add_co_ci_u32_e32 v20, vcc_lo, 0, v18, vcc_lo
	s_delay_alu instid0(VALU_DEP_2) | instskip(SKIP_1) | instid1(VALU_DEP_3)
	v_mul_lo_u32 v21, s29, v3
	v_mad_u64_u32 v[18:19], null, s28, v3, 0
	v_mul_lo_u32 v24, s28, v20
	s_delay_alu instid0(VALU_DEP_2) | instskip(NEXT) | instid1(VALU_DEP_2)
	v_sub_co_u32 v18, vcc_lo, v22, v18
	v_add3_u32 v19, v19, v24, v21
	s_delay_alu instid0(VALU_DEP_1) | instskip(NEXT) | instid1(VALU_DEP_1)
	v_sub_nc_u32_e32 v21, v28, v19
	v_subrev_co_ci_u32_e64 v21, s4, s29, v21, vcc_lo
	v_add_co_u32 v22, s4, v3, 2
	s_delay_alu instid0(VALU_DEP_1) | instskip(SKIP_3) | instid1(VALU_DEP_3)
	v_add_co_ci_u32_e64 v24, s4, 0, v20, s4
	v_sub_co_u32 v25, s4, v18, s28
	v_sub_co_ci_u32_e32 v19, vcc_lo, v28, v19, vcc_lo
	v_subrev_co_ci_u32_e64 v21, s4, 0, v21, s4
	v_cmp_le_u32_e32 vcc_lo, s28, v25
	s_delay_alu instid0(VALU_DEP_3) | instskip(SKIP_1) | instid1(VALU_DEP_4)
	v_cmp_eq_u32_e64 s4, s29, v19
	v_cndmask_b32_e64 v25, 0, -1, vcc_lo
	v_cmp_le_u32_e32 vcc_lo, s29, v21
	v_cndmask_b32_e64 v27, 0, -1, vcc_lo
	v_cmp_le_u32_e32 vcc_lo, s28, v18
	;; [unrolled: 2-line block ×3, first 2 shown]
	v_cndmask_b32_e64 v28, 0, -1, vcc_lo
	v_cmp_eq_u32_e32 vcc_lo, s29, v21
	s_delay_alu instid0(VALU_DEP_2) | instskip(SKIP_3) | instid1(VALU_DEP_3)
	v_cndmask_b32_e64 v18, v28, v18, s4
	v_cndmask_b32_e32 v21, v27, v25, vcc_lo
	v_add_co_u32 v25, vcc_lo, v3, 1
	v_add_co_ci_u32_e32 v27, vcc_lo, 0, v20, vcc_lo
	v_cmp_ne_u32_e32 vcc_lo, 0, v21
	s_delay_alu instid0(VALU_DEP_2) | instskip(NEXT) | instid1(VALU_DEP_4)
	v_cndmask_b32_e32 v19, v27, v24, vcc_lo
	v_cndmask_b32_e32 v21, v25, v22, vcc_lo
	v_cmp_ne_u32_e32 vcc_lo, 0, v18
	v_xor_b32_e32 v18, s26, v26
	s_delay_alu instid0(VALU_DEP_3) | instskip(SKIP_2) | instid1(VALU_DEP_3)
	v_cndmask_b32_e32 v3, v3, v21, vcc_lo
	v_cndmask_b32_e32 v19, v20, v19, vcc_lo
	v_xor_b32_e32 v20, s27, v26
	v_xor_b32_e32 v3, v3, v18
	s_delay_alu instid0(VALU_DEP_2) | instskip(NEXT) | instid1(VALU_DEP_2)
	v_xor_b32_e32 v19, v19, v20
	v_sub_co_u32 v18, vcc_lo, v3, v18
	s_delay_alu instid0(VALU_DEP_2)
	v_sub_co_ci_u32_e32 v19, vcc_lo, v19, v20, vcc_lo
.LBB11_61:                              ;   in Loop: Header=BB11_54 Depth=4
	s_and_not1_saveexec_b32 s4, s31
	s_cbranch_execz .LBB11_63
; %bb.62:                               ;   in Loop: Header=BB11_54 Depth=4
	s_waitcnt_depctr 0xfff
	v_mul_f32_e32 v3, 0x4f7ffffe, v23
	s_sub_i32 s26, 0, s41
	s_delay_alu instid0(VALU_DEP_1) | instskip(NEXT) | instid1(VALU_DEP_1)
	v_cvt_u32_f32_e32 v3, v3
	v_mul_lo_u32 v18, s26, v3
	s_delay_alu instid0(VALU_DEP_1) | instskip(NEXT) | instid1(VALU_DEP_1)
	v_mul_hi_u32 v18, v3, v18
	v_add_nc_u32_e32 v3, v3, v18
	s_delay_alu instid0(VALU_DEP_1) | instskip(NEXT) | instid1(VALU_DEP_1)
	v_mul_hi_u32 v3, v7, v3
	v_mul_lo_u32 v18, v3, s41
	v_add_nc_u32_e32 v19, 1, v3
	s_delay_alu instid0(VALU_DEP_2) | instskip(NEXT) | instid1(VALU_DEP_1)
	v_sub_nc_u32_e32 v18, v7, v18
	v_subrev_nc_u32_e32 v20, s41, v18
	v_cmp_le_u32_e32 vcc_lo, s41, v18
	s_delay_alu instid0(VALU_DEP_2) | instskip(NEXT) | instid1(VALU_DEP_1)
	v_dual_cndmask_b32 v18, v18, v20 :: v_dual_cndmask_b32 v3, v3, v19
	v_cmp_le_u32_e32 vcc_lo, s41, v18
	s_delay_alu instid0(VALU_DEP_2) | instskip(NEXT) | instid1(VALU_DEP_1)
	v_add_nc_u32_e32 v19, 1, v3
	v_dual_cndmask_b32 v18, v3, v19 :: v_dual_mov_b32 v19, v2
.LBB11_63:                              ;   in Loop: Header=BB11_54 Depth=4
	s_or_b32 exec_lo, exec_lo, s4
	s_delay_alu instid0(VALU_DEP_1) | instskip(NEXT) | instid1(VALU_DEP_2)
	v_mul_lo_u32 v3, v19, s41
	v_mul_lo_u32 v21, v18, s45
	v_mad_u64_u32 v[19:20], null, v18, s41, 0
	s_mov_b32 s4, exec_lo
	s_delay_alu instid0(VALU_DEP_1) | instskip(NEXT) | instid1(VALU_DEP_2)
	v_add3_u32 v3, v20, v21, v3
	v_sub_co_u32 v21, vcc_lo, v7, v19
	s_delay_alu instid0(VALU_DEP_2) | instskip(NEXT) | instid1(VALU_DEP_2)
	v_sub_co_ci_u32_e32 v3, vcc_lo, v16, v3, vcc_lo
	v_mul_lo_u32 v16, v21, s17
	v_mad_u64_u32 v[19:20], null, v21, s37, 0
	s_delay_alu instid0(VALU_DEP_3) | instskip(NEXT) | instid1(VALU_DEP_1)
	v_mul_lo_u32 v3, v3, s37
                                        ; implicit-def: $vgpr21_vgpr22
	v_add3_u32 v20, v20, v16, v3
	s_delay_alu instid0(VALU_DEP_1) | instskip(NEXT) | instid1(VALU_DEP_1)
	v_or_b32_e32 v3, s45, v20
	v_cmpx_ne_u64_e32 0, v[2:3]
	s_xor_b32 s31, exec_lo, s4
	s_cbranch_execz .LBB11_65
; %bb.64:                               ;   in Loop: Header=BB11_54 Depth=4
	s_add_u32 s28, s41, s45
	s_mov_b32 s26, s45
	s_mov_b32 s27, s45
	s_addc_u32 s29, s45, s45
	s_delay_alu instid0(SALU_CYCLE_1) | instskip(NEXT) | instid1(SALU_CYCLE_1)
	s_xor_b64 s[28:29], s[28:29], s[26:27]
	v_cvt_f32_u32_e32 v3, s28
	v_cvt_f32_u32_e32 v16, s29
	s_sub_u32 s4, 0, s28
	s_subb_u32 s27, 0, s29
	s_delay_alu instid0(VALU_DEP_1) | instskip(NEXT) | instid1(VALU_DEP_1)
	v_fmac_f32_e32 v3, 0x4f800000, v16
	v_rcp_f32_e32 v3, v3
	s_waitcnt_depctr 0xfff
	v_mul_f32_e32 v3, 0x5f7ffffc, v3
	s_delay_alu instid0(VALU_DEP_1) | instskip(NEXT) | instid1(VALU_DEP_1)
	v_mul_f32_e32 v16, 0x2f800000, v3
	v_trunc_f32_e32 v16, v16
	s_delay_alu instid0(VALU_DEP_1) | instskip(SKIP_1) | instid1(VALU_DEP_2)
	v_fmac_f32_e32 v3, 0xcf800000, v16
	v_cvt_u32_f32_e32 v16, v16
	v_cvt_u32_f32_e32 v3, v3
	s_delay_alu instid0(VALU_DEP_2) | instskip(NEXT) | instid1(VALU_DEP_2)
	v_mul_lo_u32 v21, s4, v16
	v_mul_hi_u32 v22, s4, v3
	v_mul_lo_u32 v23, s27, v3
	s_delay_alu instid0(VALU_DEP_2) | instskip(SKIP_1) | instid1(VALU_DEP_2)
	v_add_nc_u32_e32 v21, v22, v21
	v_mul_lo_u32 v22, s4, v3
	v_add_nc_u32_e32 v21, v21, v23
	s_delay_alu instid0(VALU_DEP_2) | instskip(NEXT) | instid1(VALU_DEP_2)
	v_mul_hi_u32 v23, v3, v22
	v_mul_lo_u32 v24, v3, v21
	v_mul_hi_u32 v25, v3, v21
	v_mul_hi_u32 v26, v16, v22
	v_mul_lo_u32 v22, v16, v22
	v_mul_hi_u32 v27, v16, v21
	v_mul_lo_u32 v21, v16, v21
	v_add_co_u32 v23, vcc_lo, v23, v24
	v_add_co_ci_u32_e32 v24, vcc_lo, 0, v25, vcc_lo
	s_delay_alu instid0(VALU_DEP_2) | instskip(NEXT) | instid1(VALU_DEP_2)
	v_add_co_u32 v22, vcc_lo, v23, v22
	v_add_co_ci_u32_e32 v22, vcc_lo, v24, v26, vcc_lo
	v_add_co_ci_u32_e32 v23, vcc_lo, 0, v27, vcc_lo
	v_ashrrev_i32_e32 v26, 31, v20
	s_delay_alu instid0(VALU_DEP_3) | instskip(NEXT) | instid1(VALU_DEP_3)
	v_add_co_u32 v21, vcc_lo, v22, v21
	v_add_co_ci_u32_e32 v22, vcc_lo, 0, v23, vcc_lo
	s_delay_alu instid0(VALU_DEP_2) | instskip(NEXT) | instid1(VALU_DEP_2)
	v_add_co_u32 v3, vcc_lo, v3, v21
	v_add_co_ci_u32_e32 v16, vcc_lo, v16, v22, vcc_lo
	s_delay_alu instid0(VALU_DEP_2) | instskip(SKIP_1) | instid1(VALU_DEP_3)
	v_mul_hi_u32 v21, s4, v3
	v_mul_lo_u32 v23, s27, v3
	v_mul_lo_u32 v22, s4, v16
	s_delay_alu instid0(VALU_DEP_1) | instskip(SKIP_1) | instid1(VALU_DEP_2)
	v_add_nc_u32_e32 v21, v21, v22
	v_mul_lo_u32 v22, s4, v3
	v_add_nc_u32_e32 v21, v21, v23
	s_delay_alu instid0(VALU_DEP_2) | instskip(NEXT) | instid1(VALU_DEP_2)
	v_mul_hi_u32 v23, v3, v22
	v_mul_lo_u32 v24, v3, v21
	v_mul_hi_u32 v25, v3, v21
	v_mul_hi_u32 v27, v16, v22
	v_mul_lo_u32 v22, v16, v22
	v_mul_hi_u32 v28, v16, v21
	v_mul_lo_u32 v21, v16, v21
	v_add_co_u32 v23, vcc_lo, v23, v24
	v_add_co_ci_u32_e32 v24, vcc_lo, 0, v25, vcc_lo
	s_delay_alu instid0(VALU_DEP_2) | instskip(NEXT) | instid1(VALU_DEP_2)
	v_add_co_u32 v22, vcc_lo, v23, v22
	v_add_co_ci_u32_e32 v22, vcc_lo, v24, v27, vcc_lo
	v_add_co_ci_u32_e32 v23, vcc_lo, 0, v28, vcc_lo
	v_add_co_u32 v19, vcc_lo, v19, v26
	v_add_co_ci_u32_e32 v20, vcc_lo, v20, v26, vcc_lo
	s_delay_alu instid0(VALU_DEP_4) | instskip(NEXT) | instid1(VALU_DEP_4)
	v_add_co_u32 v21, vcc_lo, v22, v21
	v_add_co_ci_u32_e32 v22, vcc_lo, 0, v23, vcc_lo
	s_delay_alu instid0(VALU_DEP_4) | instskip(NEXT) | instid1(VALU_DEP_3)
	v_xor_b32_e32 v25, v19, v26
	v_add_co_u32 v3, vcc_lo, v3, v21
	s_delay_alu instid0(VALU_DEP_3) | instskip(SKIP_1) | instid1(VALU_DEP_3)
	v_add_co_ci_u32_e32 v16, vcc_lo, v16, v22, vcc_lo
	v_xor_b32_e32 v27, v20, v26
	v_mul_hi_u32 v28, v25, v3
	s_delay_alu instid0(VALU_DEP_3) | instskip(NEXT) | instid1(VALU_DEP_3)
	v_mad_u64_u32 v[19:20], null, v25, v16, 0
	v_mad_u64_u32 v[21:22], null, v27, v3, 0
	;; [unrolled: 1-line block ×3, first 2 shown]
	s_delay_alu instid0(VALU_DEP_3) | instskip(NEXT) | instid1(VALU_DEP_4)
	v_add_co_u32 v3, vcc_lo, v28, v19
	v_add_co_ci_u32_e32 v16, vcc_lo, 0, v20, vcc_lo
	s_delay_alu instid0(VALU_DEP_2) | instskip(NEXT) | instid1(VALU_DEP_2)
	v_add_co_u32 v3, vcc_lo, v3, v21
	v_add_co_ci_u32_e32 v3, vcc_lo, v16, v22, vcc_lo
	v_add_co_ci_u32_e32 v16, vcc_lo, 0, v24, vcc_lo
	s_delay_alu instid0(VALU_DEP_2) | instskip(NEXT) | instid1(VALU_DEP_2)
	v_add_co_u32 v3, vcc_lo, v3, v23
	v_add_co_ci_u32_e32 v16, vcc_lo, 0, v16, vcc_lo
	s_delay_alu instid0(VALU_DEP_2) | instskip(SKIP_1) | instid1(VALU_DEP_3)
	v_mul_lo_u32 v21, s29, v3
	v_mad_u64_u32 v[19:20], null, s28, v3, 0
	v_mul_lo_u32 v16, s28, v16
	s_delay_alu instid0(VALU_DEP_2) | instskip(NEXT) | instid1(VALU_DEP_2)
	v_sub_co_u32 v19, vcc_lo, v25, v19
	v_add3_u32 v16, v20, v16, v21
	v_add_co_u32 v21, s4, v3, 2
	s_delay_alu instid0(VALU_DEP_2) | instskip(NEXT) | instid1(VALU_DEP_1)
	v_sub_nc_u32_e32 v20, v27, v16
	v_subrev_co_ci_u32_e64 v20, s4, s29, v20, vcc_lo
	v_sub_co_u32 v22, s4, v19, s28
	v_sub_co_ci_u32_e32 v16, vcc_lo, v27, v16, vcc_lo
	s_delay_alu instid0(VALU_DEP_3) | instskip(NEXT) | instid1(VALU_DEP_3)
	v_subrev_co_ci_u32_e64 v20, s4, 0, v20, s4
	v_cmp_le_u32_e32 vcc_lo, s28, v22
	v_cndmask_b32_e64 v22, 0, -1, vcc_lo
	s_delay_alu instid0(VALU_DEP_3)
	v_cmp_le_u32_e32 vcc_lo, s29, v20
	v_cndmask_b32_e64 v23, 0, -1, vcc_lo
	v_cmp_le_u32_e32 vcc_lo, s28, v19
	v_cndmask_b32_e64 v19, 0, -1, vcc_lo
	;; [unrolled: 2-line block ×3, first 2 shown]
	v_cmp_eq_u32_e32 vcc_lo, s29, v20
	v_cndmask_b32_e32 v20, v23, v22, vcc_lo
	v_add_co_u32 v22, vcc_lo, v3, 1
	v_cmp_eq_u32_e32 vcc_lo, s29, v16
                                        ; implicit-def: $vgpr23
	v_cndmask_b32_e32 v16, v24, v19, vcc_lo
	s_delay_alu instid0(VALU_DEP_4) | instskip(NEXT) | instid1(VALU_DEP_4)
	v_cmp_ne_u32_e32 vcc_lo, 0, v20
	v_cndmask_b32_e32 v19, v22, v21, vcc_lo
	s_delay_alu instid0(VALU_DEP_3) | instskip(SKIP_1) | instid1(VALU_DEP_3)
	v_cmp_ne_u32_e32 vcc_lo, 0, v16
	v_xor_b32_e32 v16, s26, v26
	v_cndmask_b32_e32 v3, v3, v19, vcc_lo
                                        ; implicit-def: $vgpr19_vgpr20
	s_delay_alu instid0(VALU_DEP_1) | instskip(NEXT) | instid1(VALU_DEP_1)
	v_xor_b32_e32 v3, v3, v16
	v_sub_co_u32 v21, vcc_lo, v3, v16
.LBB11_65:                              ;   in Loop: Header=BB11_54 Depth=4
	s_and_not1_saveexec_b32 s4, s31
	s_cbranch_execz .LBB11_67
; %bb.66:                               ;   in Loop: Header=BB11_54 Depth=4
	v_mul_f32_e32 v3, 0x4f7ffffe, v23
	s_sub_i32 s26, 0, s41
	s_delay_alu instid0(VALU_DEP_1) | instskip(NEXT) | instid1(VALU_DEP_1)
	v_cvt_u32_f32_e32 v3, v3
	v_mul_lo_u32 v16, s26, v3
	s_delay_alu instid0(VALU_DEP_1) | instskip(NEXT) | instid1(VALU_DEP_1)
	v_mul_hi_u32 v16, v3, v16
	v_add_nc_u32_e32 v3, v3, v16
	s_delay_alu instid0(VALU_DEP_1) | instskip(NEXT) | instid1(VALU_DEP_1)
	v_mul_hi_u32 v3, v19, v3
	v_mul_lo_u32 v16, v3, s41
	s_delay_alu instid0(VALU_DEP_1) | instskip(SKIP_1) | instid1(VALU_DEP_2)
	v_sub_nc_u32_e32 v16, v19, v16
	v_add_nc_u32_e32 v19, 1, v3
	v_subrev_nc_u32_e32 v20, s41, v16
	v_cmp_le_u32_e32 vcc_lo, s41, v16
	s_delay_alu instid0(VALU_DEP_2) | instskip(NEXT) | instid1(VALU_DEP_1)
	v_dual_cndmask_b32 v16, v16, v20 :: v_dual_cndmask_b32 v3, v3, v19
	v_cmp_le_u32_e32 vcc_lo, s41, v16
	s_delay_alu instid0(VALU_DEP_2) | instskip(NEXT) | instid1(VALU_DEP_1)
	v_add_nc_u32_e32 v19, 1, v3
	v_cndmask_b32_e32 v21, v3, v19, vcc_lo
.LBB11_67:                              ;   in Loop: Header=BB11_54 Depth=4
	s_or_b32 exec_lo, exec_lo, s4
	global_load_u16 v37, v[13:14], off
	v_mad_u64_u32 v[19:20], null, v18, s37, v[21:22]
	v_ashrrev_i32_e32 v16, 31, v15
	v_dual_mov_b32 v22, v9 :: v_dual_mov_b32 v21, v8
	s_mov_b32 s31, 0
	s_delay_alu instid0(VALU_DEP_3) | instskip(NEXT) | instid1(VALU_DEP_3)
	v_sub_nc_u32_e32 v3, v17, v19
	v_lshlrev_b64 v[18:19], 1, v[15:16]
	s_delay_alu instid0(VALU_DEP_2) | instskip(NEXT) | instid1(VALU_DEP_2)
	v_mad_u64_u32 v[16:17], null, v0, v3, v[0:1]
	v_add_co_u32 v17, vcc_lo, s22, v18
	s_delay_alu instid0(VALU_DEP_3)
	v_add_co_ci_u32_e32 v18, vcc_lo, s23, v19, vcc_lo
	v_dual_mov_b32 v20, v11 :: v_dual_mov_b32 v19, v10
	s_branch .LBB11_69
.LBB11_68:                              ;   in Loop: Header=BB11_69 Depth=5
	s_or_b32 exec_lo, exec_lo, s4
	global_load_u16 v3, v[17:18], off
	v_mad_u64_u32 v[25:26], null, v24, s40, v[27:28]
	s_delay_alu instid0(VALU_DEP_1) | instskip(NEXT) | instid1(VALU_DEP_1)
	v_sub_nc_u32_e32 v25, v23, v25
	v_mad_u64_u32 v[23:24], null, v16, v25, v[16:17]
	s_delay_alu instid0(VALU_DEP_1) | instskip(SKIP_2) | instid1(VALU_DEP_1)
	v_cvt_f32_i32_e32 v23, v23
	s_waitcnt vmcnt(0)
	v_lshlrev_b32_e32 v3, 16, v3
	v_div_scale_f32 v24, null, v23, v23, v3
	v_div_scale_f32 v27, vcc_lo, v3, v23, v3
	s_delay_alu instid0(VALU_DEP_2) | instskip(SKIP_2) | instid1(VALU_DEP_1)
	v_rcp_f32_e32 v25, v24
	s_waitcnt_depctr 0xfff
	v_fma_f32 v26, -v24, v25, 1.0
	v_fmac_f32_e32 v25, v26, v25
	s_delay_alu instid0(VALU_DEP_1) | instskip(NEXT) | instid1(VALU_DEP_1)
	v_mul_f32_e32 v26, v27, v25
	v_fma_f32 v28, -v24, v26, v27
	s_delay_alu instid0(VALU_DEP_1) | instskip(NEXT) | instid1(VALU_DEP_1)
	v_fmac_f32_e32 v26, v28, v25
	v_fma_f32 v24, -v24, v26, v27
	s_delay_alu instid0(VALU_DEP_1) | instskip(NEXT) | instid1(VALU_DEP_1)
	v_div_fmas_f32 v24, v24, v25, v26
	v_div_fixup_f32 v3, v24, v23, v3
	s_delay_alu instid0(VALU_DEP_1) | instskip(SKIP_1) | instid1(VALU_DEP_2)
	v_bfe_u32 v23, v3, 16, 1
	v_cmp_o_f32_e32 vcc_lo, v3, v3
	v_add3_u32 v23, v3, v23, 0x7fff
	s_delay_alu instid0(VALU_DEP_1) | instskip(NEXT) | instid1(VALU_DEP_1)
	v_and_b32_e32 v23, 0xffff0000, v23
	v_dual_cndmask_b32 v3, 0x7fc00000, v23 :: v_dual_lshlrev_b32 v24, 16, v37
	v_add_co_u32 v21, vcc_lo, v21, 1
	v_add_co_ci_u32_e32 v22, vcc_lo, 0, v22, vcc_lo
	s_delay_alu instid0(VALU_DEP_3) | instskip(SKIP_2) | instid1(VALU_DEP_3)
	v_add_f32_e32 v3, v3, v24
	v_add_co_u32 v17, vcc_lo, v17, 2
	v_add_co_ci_u32_e32 v18, vcc_lo, 0, v18, vcc_lo
	v_bfe_u32 v23, v3, 16, 1
	v_cmp_o_f32_e64 s4, v3, v3
	v_cmp_ge_i32_e32 vcc_lo, v21, v36
	s_delay_alu instid0(VALU_DEP_3) | instskip(SKIP_1) | instid1(VALU_DEP_1)
	v_add3_u32 v23, v3, v23, 0x7fff
	s_or_b32 s31, vcc_lo, s31
	v_lshrrev_b32_e32 v23, 16, v23
	s_delay_alu instid0(VALU_DEP_1) | instskip(SKIP_1) | instid1(VALU_DEP_1)
	v_cndmask_b32_e64 v37, 0x7fc0, v23, s4
	v_add_co_u32 v19, s4, v19, s40
	v_add_co_ci_u32_e64 v20, s4, s33, v20, s4
	global_store_b16 v[13:14], v37, off
	s_and_not1_b32 exec_lo, exec_lo, s31
	s_cbranch_execz .LBB11_53
.LBB11_69:                              ;   Parent Loop BB11_12 Depth=1
                                        ;     Parent Loop BB11_27 Depth=2
                                        ;       Parent Loop BB11_42 Depth=3
                                        ;         Parent Loop BB11_54 Depth=4
                                        ; =>        This Inner Loop Header: Depth=5
	s_delay_alu instid0(VALU_DEP_1) | instskip(SKIP_1) | instid1(VALU_DEP_1)
	v_or_b32_e32 v3, s46, v20
                                        ; implicit-def: $vgpr23_vgpr24
	s_mov_b32 s4, exec_lo
	v_cmpx_ne_u64_e32 0, v[2:3]
	s_xor_b32 s34, exec_lo, s4
	s_cbranch_execz .LBB11_71
; %bb.70:                               ;   in Loop: Header=BB11_69 Depth=5
	s_add_u32 s28, s42, s46
	s_mov_b32 s26, s46
	s_mov_b32 s27, s46
	s_addc_u32 s29, s46, s46
	s_delay_alu instid0(SALU_CYCLE_1) | instskip(NEXT) | instid1(SALU_CYCLE_1)
	s_xor_b64 s[28:29], s[28:29], s[26:27]
	v_cvt_f32_u32_e32 v3, s28
	v_cvt_f32_u32_e32 v23, s29
	s_sub_u32 s4, 0, s28
	s_subb_u32 s27, 0, s29
	s_delay_alu instid0(VALU_DEP_1) | instskip(NEXT) | instid1(VALU_DEP_1)
	v_fmac_f32_e32 v3, 0x4f800000, v23
	v_rcp_f32_e32 v3, v3
	s_waitcnt_depctr 0xfff
	v_mul_f32_e32 v3, 0x5f7ffffc, v3
	s_delay_alu instid0(VALU_DEP_1) | instskip(NEXT) | instid1(VALU_DEP_1)
	v_mul_f32_e32 v23, 0x2f800000, v3
	v_trunc_f32_e32 v23, v23
	s_delay_alu instid0(VALU_DEP_1) | instskip(SKIP_1) | instid1(VALU_DEP_2)
	v_fmac_f32_e32 v3, 0xcf800000, v23
	v_cvt_u32_f32_e32 v23, v23
	v_cvt_u32_f32_e32 v3, v3
	s_delay_alu instid0(VALU_DEP_2) | instskip(NEXT) | instid1(VALU_DEP_2)
	v_mul_lo_u32 v24, s4, v23
	v_mul_hi_u32 v25, s4, v3
	v_mul_lo_u32 v26, s27, v3
	s_delay_alu instid0(VALU_DEP_2) | instskip(SKIP_1) | instid1(VALU_DEP_2)
	v_add_nc_u32_e32 v24, v25, v24
	v_mul_lo_u32 v25, s4, v3
	v_add_nc_u32_e32 v24, v24, v26
	s_delay_alu instid0(VALU_DEP_2) | instskip(NEXT) | instid1(VALU_DEP_2)
	v_mul_hi_u32 v26, v3, v25
	v_mul_lo_u32 v27, v3, v24
	v_mul_hi_u32 v28, v3, v24
	v_mul_hi_u32 v38, v23, v25
	v_mul_lo_u32 v25, v23, v25
	v_mul_hi_u32 v39, v23, v24
	v_mul_lo_u32 v24, v23, v24
	v_add_co_u32 v26, vcc_lo, v26, v27
	v_add_co_ci_u32_e32 v27, vcc_lo, 0, v28, vcc_lo
	s_delay_alu instid0(VALU_DEP_2) | instskip(NEXT) | instid1(VALU_DEP_2)
	v_add_co_u32 v25, vcc_lo, v26, v25
	v_add_co_ci_u32_e32 v25, vcc_lo, v27, v38, vcc_lo
	v_add_co_ci_u32_e32 v26, vcc_lo, 0, v39, vcc_lo
	v_ashrrev_i32_e32 v38, 31, v20
	s_delay_alu instid0(VALU_DEP_3) | instskip(NEXT) | instid1(VALU_DEP_3)
	v_add_co_u32 v24, vcc_lo, v25, v24
	v_add_co_ci_u32_e32 v25, vcc_lo, 0, v26, vcc_lo
	s_delay_alu instid0(VALU_DEP_2) | instskip(NEXT) | instid1(VALU_DEP_2)
	v_add_co_u32 v3, vcc_lo, v3, v24
	v_add_co_ci_u32_e32 v23, vcc_lo, v23, v25, vcc_lo
	s_delay_alu instid0(VALU_DEP_2) | instskip(SKIP_1) | instid1(VALU_DEP_3)
	v_mul_hi_u32 v24, s4, v3
	v_mul_lo_u32 v26, s27, v3
	v_mul_lo_u32 v25, s4, v23
	s_delay_alu instid0(VALU_DEP_1) | instskip(SKIP_1) | instid1(VALU_DEP_2)
	v_add_nc_u32_e32 v24, v24, v25
	v_mul_lo_u32 v25, s4, v3
	v_add_nc_u32_e32 v24, v24, v26
	s_delay_alu instid0(VALU_DEP_2) | instskip(NEXT) | instid1(VALU_DEP_2)
	v_mul_hi_u32 v26, v3, v25
	v_mul_lo_u32 v27, v3, v24
	v_mul_hi_u32 v28, v3, v24
	v_mul_hi_u32 v39, v23, v25
	v_mul_lo_u32 v25, v23, v25
	v_mul_hi_u32 v40, v23, v24
	v_mul_lo_u32 v24, v23, v24
	v_add_co_u32 v26, vcc_lo, v26, v27
	v_add_co_ci_u32_e32 v27, vcc_lo, 0, v28, vcc_lo
	s_delay_alu instid0(VALU_DEP_2) | instskip(NEXT) | instid1(VALU_DEP_2)
	v_add_co_u32 v25, vcc_lo, v26, v25
	v_add_co_ci_u32_e32 v25, vcc_lo, v27, v39, vcc_lo
	v_add_co_ci_u32_e32 v26, vcc_lo, 0, v40, vcc_lo
	v_add_co_u32 v27, vcc_lo, v19, v38
	v_add_co_ci_u32_e32 v28, vcc_lo, v20, v38, vcc_lo
	s_delay_alu instid0(VALU_DEP_4) | instskip(NEXT) | instid1(VALU_DEP_4)
	v_add_co_u32 v24, vcc_lo, v25, v24
	v_add_co_ci_u32_e32 v25, vcc_lo, 0, v26, vcc_lo
	s_delay_alu instid0(VALU_DEP_4) | instskip(NEXT) | instid1(VALU_DEP_3)
	v_xor_b32_e32 v39, v27, v38
	v_add_co_u32 v3, vcc_lo, v3, v24
	s_delay_alu instid0(VALU_DEP_3) | instskip(SKIP_1) | instid1(VALU_DEP_3)
	v_add_co_ci_u32_e32 v40, vcc_lo, v23, v25, vcc_lo
	v_xor_b32_e32 v41, v28, v38
	v_mul_hi_u32 v42, v39, v3
	s_delay_alu instid0(VALU_DEP_3) | instskip(NEXT) | instid1(VALU_DEP_3)
	v_mad_u64_u32 v[23:24], null, v39, v40, 0
	v_mad_u64_u32 v[25:26], null, v41, v3, 0
	;; [unrolled: 1-line block ×3, first 2 shown]
	s_delay_alu instid0(VALU_DEP_3) | instskip(NEXT) | instid1(VALU_DEP_4)
	v_add_co_u32 v3, vcc_lo, v42, v23
	v_add_co_ci_u32_e32 v23, vcc_lo, 0, v24, vcc_lo
	s_delay_alu instid0(VALU_DEP_2) | instskip(NEXT) | instid1(VALU_DEP_2)
	v_add_co_u32 v3, vcc_lo, v3, v25
	v_add_co_ci_u32_e32 v3, vcc_lo, v23, v26, vcc_lo
	v_add_co_ci_u32_e32 v23, vcc_lo, 0, v28, vcc_lo
	s_delay_alu instid0(VALU_DEP_2) | instskip(NEXT) | instid1(VALU_DEP_2)
	v_add_co_u32 v3, vcc_lo, v3, v27
	v_add_co_ci_u32_e32 v25, vcc_lo, 0, v23, vcc_lo
	s_delay_alu instid0(VALU_DEP_2) | instskip(SKIP_1) | instid1(VALU_DEP_3)
	v_mul_lo_u32 v26, s29, v3
	v_mad_u64_u32 v[23:24], null, s28, v3, 0
	v_mul_lo_u32 v25, s28, v25
	s_delay_alu instid0(VALU_DEP_2) | instskip(NEXT) | instid1(VALU_DEP_2)
	v_sub_co_u32 v23, vcc_lo, v39, v23
	v_add3_u32 v24, v24, v25, v26
	v_add_co_u32 v26, s4, v3, 2
	s_delay_alu instid0(VALU_DEP_2) | instskip(NEXT) | instid1(VALU_DEP_1)
	v_sub_nc_u32_e32 v25, v41, v24
	v_subrev_co_ci_u32_e64 v25, s4, s29, v25, vcc_lo
	v_sub_co_u32 v27, s4, v23, s28
	v_sub_co_ci_u32_e32 v24, vcc_lo, v41, v24, vcc_lo
	s_delay_alu instid0(VALU_DEP_3) | instskip(NEXT) | instid1(VALU_DEP_3)
	v_subrev_co_ci_u32_e64 v25, s4, 0, v25, s4
	v_cmp_le_u32_e32 vcc_lo, s28, v27
	v_cndmask_b32_e64 v27, 0, -1, vcc_lo
	s_delay_alu instid0(VALU_DEP_3)
	v_cmp_le_u32_e32 vcc_lo, s29, v25
	v_cndmask_b32_e64 v28, 0, -1, vcc_lo
	v_cmp_le_u32_e32 vcc_lo, s28, v23
	v_cndmask_b32_e64 v23, 0, -1, vcc_lo
	;; [unrolled: 2-line block ×3, first 2 shown]
	v_cmp_eq_u32_e32 vcc_lo, s29, v25
	v_cndmask_b32_e32 v25, v28, v27, vcc_lo
	v_add_co_u32 v27, vcc_lo, v3, 1
	v_cmp_eq_u32_e32 vcc_lo, s29, v24
	v_cndmask_b32_e32 v23, v39, v23, vcc_lo
	s_delay_alu instid0(VALU_DEP_4) | instskip(NEXT) | instid1(VALU_DEP_4)
	v_cmp_ne_u32_e32 vcc_lo, 0, v25
	v_cndmask_b32_e32 v24, v27, v26, vcc_lo
	s_delay_alu instid0(VALU_DEP_3) | instskip(SKIP_1) | instid1(VALU_DEP_3)
	v_cmp_ne_u32_e32 vcc_lo, 0, v23
	v_xor_b32_e32 v23, s26, v38
	v_cndmask_b32_e32 v3, v3, v24, vcc_lo
	s_delay_alu instid0(VALU_DEP_1) | instskip(NEXT) | instid1(VALU_DEP_1)
	v_xor_b32_e32 v3, v3, v23
	v_sub_co_u32 v23, vcc_lo, v3, v23
.LBB11_71:                              ;   in Loop: Header=BB11_69 Depth=5
	s_or_saveexec_b32 s4, s34
	v_cvt_f32_u32_e32 v38, s42
	s_xor_b32 exec_lo, exec_lo, s4
	s_cbranch_execz .LBB11_73
; %bb.72:                               ;   in Loop: Header=BB11_69 Depth=5
	s_delay_alu instid0(VALU_DEP_1) | instskip(SKIP_3) | instid1(VALU_DEP_1)
	v_rcp_iflag_f32_e32 v3, v38
	s_sub_i32 s26, 0, s42
	s_waitcnt_depctr 0xfff
	v_mul_f32_e32 v3, 0x4f7ffffe, v3
	v_cvt_u32_f32_e32 v3, v3
	s_delay_alu instid0(VALU_DEP_1) | instskip(NEXT) | instid1(VALU_DEP_1)
	v_mul_lo_u32 v23, s26, v3
	v_mul_hi_u32 v23, v3, v23
	s_delay_alu instid0(VALU_DEP_1) | instskip(NEXT) | instid1(VALU_DEP_1)
	v_add_nc_u32_e32 v3, v3, v23
	v_mul_hi_u32 v3, v19, v3
	s_delay_alu instid0(VALU_DEP_1) | instskip(NEXT) | instid1(VALU_DEP_1)
	v_mul_lo_u32 v23, v3, s42
	v_sub_nc_u32_e32 v23, v19, v23
	s_delay_alu instid0(VALU_DEP_1) | instskip(SKIP_1) | instid1(VALU_DEP_2)
	v_subrev_nc_u32_e32 v25, s42, v23
	v_cmp_le_u32_e32 vcc_lo, s42, v23
	v_dual_cndmask_b32 v23, v23, v25 :: v_dual_add_nc_u32 v24, 1, v3
	s_delay_alu instid0(VALU_DEP_1) | instskip(NEXT) | instid1(VALU_DEP_2)
	v_cndmask_b32_e32 v3, v3, v24, vcc_lo
	v_cmp_le_u32_e32 vcc_lo, s42, v23
	s_delay_alu instid0(VALU_DEP_2) | instskip(NEXT) | instid1(VALU_DEP_1)
	v_add_nc_u32_e32 v24, 1, v3
	v_cndmask_b32_e32 v23, v3, v24, vcc_lo
.LBB11_73:                              ;   in Loop: Header=BB11_69 Depth=5
	s_or_b32 exec_lo, exec_lo, s4
	v_or_b32_e32 v3, s46, v22
                                        ; implicit-def: $vgpr24_vgpr25
	s_mov_b32 s4, exec_lo
	s_delay_alu instid0(VALU_DEP_1)
	v_cmpx_ne_u64_e32 0, v[2:3]
	s_xor_b32 s34, exec_lo, s4
	s_cbranch_execz .LBB11_75
; %bb.74:                               ;   in Loop: Header=BB11_69 Depth=5
	s_add_u32 s28, s42, s46
	s_mov_b32 s26, s46
	s_mov_b32 s27, s46
	s_addc_u32 s29, s46, s46
	s_delay_alu instid0(SALU_CYCLE_1) | instskip(NEXT) | instid1(SALU_CYCLE_1)
	s_xor_b64 s[28:29], s[28:29], s[26:27]
	v_cvt_f32_u32_e32 v3, s28
	v_cvt_f32_u32_e32 v24, s29
	s_sub_u32 s4, 0, s28
	s_subb_u32 s35, 0, s29
	s_delay_alu instid0(VALU_DEP_1) | instskip(NEXT) | instid1(VALU_DEP_1)
	v_fmac_f32_e32 v3, 0x4f800000, v24
	v_rcp_f32_e32 v3, v3
	s_waitcnt_depctr 0xfff
	v_mul_f32_e32 v3, 0x5f7ffffc, v3
	s_delay_alu instid0(VALU_DEP_1) | instskip(NEXT) | instid1(VALU_DEP_1)
	v_mul_f32_e32 v24, 0x2f800000, v3
	v_trunc_f32_e32 v24, v24
	s_delay_alu instid0(VALU_DEP_1) | instskip(SKIP_1) | instid1(VALU_DEP_2)
	v_fmac_f32_e32 v3, 0xcf800000, v24
	v_cvt_u32_f32_e32 v24, v24
	v_cvt_u32_f32_e32 v3, v3
	s_delay_alu instid0(VALU_DEP_2) | instskip(NEXT) | instid1(VALU_DEP_2)
	v_mul_lo_u32 v25, s4, v24
	v_mul_hi_u32 v26, s4, v3
	v_mul_lo_u32 v27, s35, v3
	s_delay_alu instid0(VALU_DEP_2) | instskip(SKIP_1) | instid1(VALU_DEP_2)
	v_add_nc_u32_e32 v25, v26, v25
	v_mul_lo_u32 v26, s4, v3
	v_add_nc_u32_e32 v25, v25, v27
	s_delay_alu instid0(VALU_DEP_2) | instskip(NEXT) | instid1(VALU_DEP_2)
	v_mul_hi_u32 v27, v3, v26
	v_mul_lo_u32 v28, v3, v25
	v_mul_hi_u32 v39, v3, v25
	v_mul_hi_u32 v40, v24, v26
	v_mul_lo_u32 v26, v24, v26
	v_mul_hi_u32 v41, v24, v25
	v_mul_lo_u32 v25, v24, v25
	v_add_co_u32 v27, vcc_lo, v27, v28
	v_add_co_ci_u32_e32 v28, vcc_lo, 0, v39, vcc_lo
	s_delay_alu instid0(VALU_DEP_2) | instskip(NEXT) | instid1(VALU_DEP_2)
	v_add_co_u32 v26, vcc_lo, v27, v26
	v_add_co_ci_u32_e32 v26, vcc_lo, v28, v40, vcc_lo
	v_add_co_ci_u32_e32 v27, vcc_lo, 0, v41, vcc_lo
	v_ashrrev_i32_e32 v41, 31, v22
	s_delay_alu instid0(VALU_DEP_3) | instskip(NEXT) | instid1(VALU_DEP_3)
	v_add_co_u32 v25, vcc_lo, v26, v25
	v_add_co_ci_u32_e32 v26, vcc_lo, 0, v27, vcc_lo
	s_delay_alu instid0(VALU_DEP_2) | instskip(NEXT) | instid1(VALU_DEP_2)
	v_add_co_u32 v3, vcc_lo, v3, v25
	v_add_co_ci_u32_e32 v24, vcc_lo, v24, v26, vcc_lo
	s_delay_alu instid0(VALU_DEP_2) | instskip(SKIP_1) | instid1(VALU_DEP_3)
	v_mul_hi_u32 v25, s4, v3
	v_mul_lo_u32 v27, s35, v3
	v_mul_lo_u32 v26, s4, v24
	s_delay_alu instid0(VALU_DEP_1) | instskip(SKIP_1) | instid1(VALU_DEP_2)
	v_add_nc_u32_e32 v25, v25, v26
	v_mul_lo_u32 v26, s4, v3
	v_add_nc_u32_e32 v25, v25, v27
	s_delay_alu instid0(VALU_DEP_2) | instskip(NEXT) | instid1(VALU_DEP_2)
	v_mul_hi_u32 v27, v3, v26
	v_mul_lo_u32 v28, v3, v25
	v_mul_hi_u32 v39, v3, v25
	v_mul_hi_u32 v40, v24, v26
	v_mul_lo_u32 v26, v24, v26
	v_mul_hi_u32 v42, v24, v25
	v_mul_lo_u32 v25, v24, v25
	v_add_co_u32 v27, vcc_lo, v27, v28
	v_add_co_ci_u32_e32 v28, vcc_lo, 0, v39, vcc_lo
	s_delay_alu instid0(VALU_DEP_2) | instskip(NEXT) | instid1(VALU_DEP_2)
	v_add_co_u32 v26, vcc_lo, v27, v26
	v_add_co_ci_u32_e32 v26, vcc_lo, v28, v40, vcc_lo
	v_add_co_ci_u32_e32 v27, vcc_lo, 0, v42, vcc_lo
	v_add_co_u32 v28, vcc_lo, v21, v41
	v_add_co_ci_u32_e32 v39, vcc_lo, v22, v41, vcc_lo
	s_delay_alu instid0(VALU_DEP_4) | instskip(NEXT) | instid1(VALU_DEP_4)
	v_add_co_u32 v25, vcc_lo, v26, v25
	v_add_co_ci_u32_e32 v26, vcc_lo, 0, v27, vcc_lo
	s_delay_alu instid0(VALU_DEP_4) | instskip(NEXT) | instid1(VALU_DEP_3)
	v_xor_b32_e32 v28, v28, v41
	v_add_co_u32 v3, vcc_lo, v3, v25
	s_delay_alu instid0(VALU_DEP_3) | instskip(SKIP_1) | instid1(VALU_DEP_3)
	v_add_co_ci_u32_e32 v42, vcc_lo, v24, v26, vcc_lo
	v_xor_b32_e32 v43, v39, v41
	v_mul_hi_u32 v44, v28, v3
	s_delay_alu instid0(VALU_DEP_3) | instskip(NEXT) | instid1(VALU_DEP_3)
	v_mad_u64_u32 v[24:25], null, v28, v42, 0
	v_mad_u64_u32 v[26:27], null, v43, v3, 0
	;; [unrolled: 1-line block ×3, first 2 shown]
	s_delay_alu instid0(VALU_DEP_3) | instskip(NEXT) | instid1(VALU_DEP_4)
	v_add_co_u32 v3, vcc_lo, v44, v24
	v_add_co_ci_u32_e32 v24, vcc_lo, 0, v25, vcc_lo
	s_delay_alu instid0(VALU_DEP_2) | instskip(NEXT) | instid1(VALU_DEP_2)
	v_add_co_u32 v3, vcc_lo, v3, v26
	v_add_co_ci_u32_e32 v3, vcc_lo, v24, v27, vcc_lo
	v_add_co_ci_u32_e32 v24, vcc_lo, 0, v40, vcc_lo
	s_delay_alu instid0(VALU_DEP_2) | instskip(NEXT) | instid1(VALU_DEP_2)
	v_add_co_u32 v3, vcc_lo, v3, v39
	v_add_co_ci_u32_e32 v26, vcc_lo, 0, v24, vcc_lo
	s_delay_alu instid0(VALU_DEP_2) | instskip(SKIP_1) | instid1(VALU_DEP_3)
	v_mul_lo_u32 v27, s29, v3
	v_mad_u64_u32 v[24:25], null, s28, v3, 0
	v_mul_lo_u32 v39, s28, v26
	s_delay_alu instid0(VALU_DEP_2) | instskip(NEXT) | instid1(VALU_DEP_2)
	v_sub_co_u32 v24, vcc_lo, v28, v24
	v_add3_u32 v25, v25, v39, v27
	s_delay_alu instid0(VALU_DEP_1) | instskip(NEXT) | instid1(VALU_DEP_1)
	v_sub_nc_u32_e32 v27, v43, v25
	v_subrev_co_ci_u32_e64 v27, s4, s29, v27, vcc_lo
	v_add_co_u32 v28, s4, v3, 2
	s_delay_alu instid0(VALU_DEP_1) | instskip(SKIP_3) | instid1(VALU_DEP_3)
	v_add_co_ci_u32_e64 v39, s4, 0, v26, s4
	v_sub_co_u32 v40, s4, v24, s28
	v_sub_co_ci_u32_e32 v25, vcc_lo, v43, v25, vcc_lo
	v_subrev_co_ci_u32_e64 v27, s4, 0, v27, s4
	v_cmp_le_u32_e32 vcc_lo, s28, v40
	s_delay_alu instid0(VALU_DEP_3) | instskip(SKIP_1) | instid1(VALU_DEP_4)
	v_cmp_eq_u32_e64 s4, s29, v25
	v_cndmask_b32_e64 v40, 0, -1, vcc_lo
	v_cmp_le_u32_e32 vcc_lo, s29, v27
	v_cndmask_b32_e64 v42, 0, -1, vcc_lo
	v_cmp_le_u32_e32 vcc_lo, s28, v24
	;; [unrolled: 2-line block ×3, first 2 shown]
	v_cndmask_b32_e64 v43, 0, -1, vcc_lo
	v_cmp_eq_u32_e32 vcc_lo, s29, v27
	s_delay_alu instid0(VALU_DEP_2) | instskip(SKIP_3) | instid1(VALU_DEP_3)
	v_cndmask_b32_e64 v24, v43, v24, s4
	v_cndmask_b32_e32 v27, v42, v40, vcc_lo
	v_add_co_u32 v40, vcc_lo, v3, 1
	v_add_co_ci_u32_e32 v42, vcc_lo, 0, v26, vcc_lo
	v_cmp_ne_u32_e32 vcc_lo, 0, v27
	s_delay_alu instid0(VALU_DEP_2) | instskip(NEXT) | instid1(VALU_DEP_4)
	v_cndmask_b32_e32 v25, v42, v39, vcc_lo
	v_cndmask_b32_e32 v27, v40, v28, vcc_lo
	v_cmp_ne_u32_e32 vcc_lo, 0, v24
	v_xor_b32_e32 v24, s26, v41
	s_delay_alu instid0(VALU_DEP_3) | instskip(SKIP_2) | instid1(VALU_DEP_3)
	v_cndmask_b32_e32 v3, v3, v27, vcc_lo
	v_cndmask_b32_e32 v25, v26, v25, vcc_lo
	v_xor_b32_e32 v26, s27, v41
	v_xor_b32_e32 v3, v3, v24
	s_delay_alu instid0(VALU_DEP_2) | instskip(NEXT) | instid1(VALU_DEP_2)
	v_xor_b32_e32 v25, v25, v26
	v_sub_co_u32 v24, vcc_lo, v3, v24
	s_delay_alu instid0(VALU_DEP_2)
	v_sub_co_ci_u32_e32 v25, vcc_lo, v25, v26, vcc_lo
.LBB11_75:                              ;   in Loop: Header=BB11_69 Depth=5
	s_and_not1_saveexec_b32 s4, s34
	s_cbranch_execz .LBB11_77
; %bb.76:                               ;   in Loop: Header=BB11_69 Depth=5
	v_rcp_iflag_f32_e32 v3, v38
	s_sub_i32 s26, 0, s42
	s_waitcnt_depctr 0xfff
	v_mul_f32_e32 v3, 0x4f7ffffe, v3
	s_delay_alu instid0(VALU_DEP_1) | instskip(NEXT) | instid1(VALU_DEP_1)
	v_cvt_u32_f32_e32 v3, v3
	v_mul_lo_u32 v24, s26, v3
	s_delay_alu instid0(VALU_DEP_1) | instskip(NEXT) | instid1(VALU_DEP_1)
	v_mul_hi_u32 v24, v3, v24
	v_add_nc_u32_e32 v3, v3, v24
	s_delay_alu instid0(VALU_DEP_1) | instskip(NEXT) | instid1(VALU_DEP_1)
	v_mul_hi_u32 v3, v21, v3
	v_mul_lo_u32 v24, v3, s42
	v_add_nc_u32_e32 v25, 1, v3
	s_delay_alu instid0(VALU_DEP_2) | instskip(NEXT) | instid1(VALU_DEP_1)
	v_sub_nc_u32_e32 v24, v21, v24
	v_subrev_nc_u32_e32 v26, s42, v24
	v_cmp_le_u32_e32 vcc_lo, s42, v24
	s_delay_alu instid0(VALU_DEP_2) | instskip(NEXT) | instid1(VALU_DEP_1)
	v_dual_cndmask_b32 v24, v24, v26 :: v_dual_cndmask_b32 v3, v3, v25
	v_cmp_le_u32_e32 vcc_lo, s42, v24
	s_delay_alu instid0(VALU_DEP_2) | instskip(NEXT) | instid1(VALU_DEP_1)
	v_add_nc_u32_e32 v25, 1, v3
	v_dual_cndmask_b32 v24, v3, v25 :: v_dual_mov_b32 v25, v2
.LBB11_77:                              ;   in Loop: Header=BB11_69 Depth=5
	s_or_b32 exec_lo, exec_lo, s4
	s_delay_alu instid0(VALU_DEP_1) | instskip(NEXT) | instid1(VALU_DEP_2)
	v_mul_lo_u32 v3, v25, s42
	v_mul_lo_u32 v27, v24, s46
	v_mad_u64_u32 v[25:26], null, v24, s42, 0
	s_mov_b32 s4, exec_lo
	s_delay_alu instid0(VALU_DEP_1) | instskip(NEXT) | instid1(VALU_DEP_2)
	v_add3_u32 v3, v26, v27, v3
	v_sub_co_u32 v27, vcc_lo, v21, v25
	s_delay_alu instid0(VALU_DEP_2) | instskip(NEXT) | instid1(VALU_DEP_2)
	v_sub_co_ci_u32_e32 v3, vcc_lo, v22, v3, vcc_lo
	v_mul_lo_u32 v28, v27, s33
	v_mad_u64_u32 v[25:26], null, v27, s40, 0
	s_delay_alu instid0(VALU_DEP_3) | instskip(NEXT) | instid1(VALU_DEP_1)
	v_mul_lo_u32 v3, v3, s40
	v_add3_u32 v26, v26, v28, v3
                                        ; implicit-def: $vgpr27_vgpr28
	s_delay_alu instid0(VALU_DEP_1) | instskip(NEXT) | instid1(VALU_DEP_1)
	v_or_b32_e32 v3, s46, v26
	v_cmpx_ne_u64_e32 0, v[2:3]
	s_xor_b32 s34, exec_lo, s4
	s_cbranch_execz .LBB11_79
; %bb.78:                               ;   in Loop: Header=BB11_69 Depth=5
	s_add_u32 s28, s42, s46
	s_mov_b32 s26, s46
	s_mov_b32 s27, s46
	s_addc_u32 s29, s46, s46
	s_delay_alu instid0(SALU_CYCLE_1) | instskip(NEXT) | instid1(SALU_CYCLE_1)
	s_xor_b64 s[28:29], s[28:29], s[26:27]
	v_cvt_f32_u32_e32 v3, s28
	v_cvt_f32_u32_e32 v27, s29
	s_sub_u32 s4, 0, s28
	s_subb_u32 s27, 0, s29
	s_delay_alu instid0(VALU_DEP_1) | instskip(NEXT) | instid1(VALU_DEP_1)
	v_fmac_f32_e32 v3, 0x4f800000, v27
	v_rcp_f32_e32 v3, v3
	s_waitcnt_depctr 0xfff
	v_mul_f32_e32 v3, 0x5f7ffffc, v3
	s_delay_alu instid0(VALU_DEP_1) | instskip(NEXT) | instid1(VALU_DEP_1)
	v_mul_f32_e32 v27, 0x2f800000, v3
	v_trunc_f32_e32 v27, v27
	s_delay_alu instid0(VALU_DEP_1) | instskip(SKIP_1) | instid1(VALU_DEP_2)
	v_fmac_f32_e32 v3, 0xcf800000, v27
	v_cvt_u32_f32_e32 v27, v27
	v_cvt_u32_f32_e32 v3, v3
	s_delay_alu instid0(VALU_DEP_2) | instskip(NEXT) | instid1(VALU_DEP_2)
	v_mul_lo_u32 v28, s4, v27
	v_mul_hi_u32 v38, s4, v3
	v_mul_lo_u32 v39, s27, v3
	s_delay_alu instid0(VALU_DEP_2) | instskip(SKIP_1) | instid1(VALU_DEP_2)
	v_add_nc_u32_e32 v28, v38, v28
	v_mul_lo_u32 v38, s4, v3
	v_add_nc_u32_e32 v28, v28, v39
	s_delay_alu instid0(VALU_DEP_2) | instskip(NEXT) | instid1(VALU_DEP_2)
	v_mul_hi_u32 v39, v3, v38
	v_mul_lo_u32 v40, v3, v28
	v_mul_hi_u32 v41, v3, v28
	v_mul_hi_u32 v42, v27, v38
	v_mul_lo_u32 v38, v27, v38
	v_mul_hi_u32 v43, v27, v28
	v_mul_lo_u32 v28, v27, v28
	v_add_co_u32 v39, vcc_lo, v39, v40
	v_add_co_ci_u32_e32 v40, vcc_lo, 0, v41, vcc_lo
	s_delay_alu instid0(VALU_DEP_2) | instskip(NEXT) | instid1(VALU_DEP_2)
	v_add_co_u32 v38, vcc_lo, v39, v38
	v_add_co_ci_u32_e32 v38, vcc_lo, v40, v42, vcc_lo
	v_add_co_ci_u32_e32 v39, vcc_lo, 0, v43, vcc_lo
	v_ashrrev_i32_e32 v42, 31, v26
	s_delay_alu instid0(VALU_DEP_3) | instskip(NEXT) | instid1(VALU_DEP_3)
	v_add_co_u32 v28, vcc_lo, v38, v28
	v_add_co_ci_u32_e32 v38, vcc_lo, 0, v39, vcc_lo
	s_delay_alu instid0(VALU_DEP_2) | instskip(NEXT) | instid1(VALU_DEP_2)
	v_add_co_u32 v3, vcc_lo, v3, v28
	v_add_co_ci_u32_e32 v27, vcc_lo, v27, v38, vcc_lo
	s_delay_alu instid0(VALU_DEP_2) | instskip(SKIP_1) | instid1(VALU_DEP_3)
	v_mul_hi_u32 v28, s4, v3
	v_mul_lo_u32 v39, s27, v3
	v_mul_lo_u32 v38, s4, v27
	s_delay_alu instid0(VALU_DEP_1) | instskip(SKIP_1) | instid1(VALU_DEP_2)
	v_add_nc_u32_e32 v28, v28, v38
	v_mul_lo_u32 v38, s4, v3
	v_add_nc_u32_e32 v28, v28, v39
	s_delay_alu instid0(VALU_DEP_2) | instskip(NEXT) | instid1(VALU_DEP_2)
	v_mul_hi_u32 v39, v3, v38
	v_mul_lo_u32 v40, v3, v28
	v_mul_hi_u32 v41, v3, v28
	v_mul_hi_u32 v43, v27, v38
	v_mul_lo_u32 v38, v27, v38
	v_mul_hi_u32 v44, v27, v28
	v_mul_lo_u32 v28, v27, v28
	v_add_co_u32 v39, vcc_lo, v39, v40
	v_add_co_ci_u32_e32 v40, vcc_lo, 0, v41, vcc_lo
	s_delay_alu instid0(VALU_DEP_2) | instskip(NEXT) | instid1(VALU_DEP_2)
	v_add_co_u32 v38, vcc_lo, v39, v38
	v_add_co_ci_u32_e32 v38, vcc_lo, v40, v43, vcc_lo
	v_add_co_ci_u32_e32 v39, vcc_lo, 0, v44, vcc_lo
	v_add_co_u32 v25, vcc_lo, v25, v42
	v_add_co_ci_u32_e32 v26, vcc_lo, v26, v42, vcc_lo
	s_delay_alu instid0(VALU_DEP_4) | instskip(NEXT) | instid1(VALU_DEP_4)
	v_add_co_u32 v28, vcc_lo, v38, v28
	v_add_co_ci_u32_e32 v38, vcc_lo, 0, v39, vcc_lo
	s_delay_alu instid0(VALU_DEP_4) | instskip(NEXT) | instid1(VALU_DEP_3)
	v_xor_b32_e32 v40, v25, v42
	v_add_co_u32 v3, vcc_lo, v3, v28
	s_delay_alu instid0(VALU_DEP_3) | instskip(SKIP_1) | instid1(VALU_DEP_3)
	v_add_co_ci_u32_e32 v41, vcc_lo, v27, v38, vcc_lo
	v_xor_b32_e32 v43, v26, v42
	v_mul_hi_u32 v44, v40, v3
	s_delay_alu instid0(VALU_DEP_3) | instskip(NEXT) | instid1(VALU_DEP_3)
	v_mad_u64_u32 v[25:26], null, v40, v41, 0
	v_mad_u64_u32 v[27:28], null, v43, v3, 0
	;; [unrolled: 1-line block ×3, first 2 shown]
	s_delay_alu instid0(VALU_DEP_3) | instskip(NEXT) | instid1(VALU_DEP_4)
	v_add_co_u32 v3, vcc_lo, v44, v25
	v_add_co_ci_u32_e32 v25, vcc_lo, 0, v26, vcc_lo
	s_delay_alu instid0(VALU_DEP_2) | instskip(NEXT) | instid1(VALU_DEP_2)
	v_add_co_u32 v3, vcc_lo, v3, v27
	v_add_co_ci_u32_e32 v3, vcc_lo, v25, v28, vcc_lo
	v_add_co_ci_u32_e32 v25, vcc_lo, 0, v39, vcc_lo
	s_delay_alu instid0(VALU_DEP_2) | instskip(NEXT) | instid1(VALU_DEP_2)
	v_add_co_u32 v3, vcc_lo, v3, v38
	v_add_co_ci_u32_e32 v27, vcc_lo, 0, v25, vcc_lo
	s_delay_alu instid0(VALU_DEP_2) | instskip(SKIP_1) | instid1(VALU_DEP_3)
	v_mul_lo_u32 v28, s29, v3
	v_mad_u64_u32 v[25:26], null, s28, v3, 0
	v_mul_lo_u32 v27, s28, v27
	s_delay_alu instid0(VALU_DEP_2) | instskip(NEXT) | instid1(VALU_DEP_2)
	v_sub_co_u32 v25, vcc_lo, v40, v25
	v_add3_u32 v26, v26, v27, v28
	v_add_co_u32 v28, s4, v3, 2
	s_delay_alu instid0(VALU_DEP_2) | instskip(NEXT) | instid1(VALU_DEP_1)
	v_sub_nc_u32_e32 v27, v43, v26
	v_subrev_co_ci_u32_e64 v27, s4, s29, v27, vcc_lo
	v_sub_co_u32 v38, s4, v25, s28
	v_sub_co_ci_u32_e32 v26, vcc_lo, v43, v26, vcc_lo
	s_delay_alu instid0(VALU_DEP_3) | instskip(NEXT) | instid1(VALU_DEP_3)
	v_subrev_co_ci_u32_e64 v27, s4, 0, v27, s4
	v_cmp_le_u32_e32 vcc_lo, s28, v38
	v_cndmask_b32_e64 v38, 0, -1, vcc_lo
	s_delay_alu instid0(VALU_DEP_3)
	v_cmp_le_u32_e32 vcc_lo, s29, v27
	v_cndmask_b32_e64 v39, 0, -1, vcc_lo
	v_cmp_le_u32_e32 vcc_lo, s28, v25
	v_cndmask_b32_e64 v25, 0, -1, vcc_lo
	;; [unrolled: 2-line block ×3, first 2 shown]
	v_cmp_eq_u32_e32 vcc_lo, s29, v27
	v_cndmask_b32_e32 v27, v39, v38, vcc_lo
	v_add_co_u32 v38, vcc_lo, v3, 1
	v_cmp_eq_u32_e32 vcc_lo, s29, v26
	v_cndmask_b32_e32 v25, v40, v25, vcc_lo
	s_delay_alu instid0(VALU_DEP_4) | instskip(NEXT) | instid1(VALU_DEP_4)
	v_cmp_ne_u32_e32 vcc_lo, 0, v27
	v_cndmask_b32_e32 v26, v38, v28, vcc_lo
	s_delay_alu instid0(VALU_DEP_3) | instskip(SKIP_1) | instid1(VALU_DEP_3)
	v_cmp_ne_u32_e32 vcc_lo, 0, v25
	v_xor_b32_e32 v25, s26, v42
                                        ; implicit-def: $vgpr38
	v_cndmask_b32_e32 v3, v3, v26, vcc_lo
	s_delay_alu instid0(VALU_DEP_1) | instskip(NEXT) | instid1(VALU_DEP_1)
	v_xor_b32_e32 v3, v3, v25
	v_sub_co_u32 v27, vcc_lo, v3, v25
                                        ; implicit-def: $vgpr25_vgpr26
.LBB11_79:                              ;   in Loop: Header=BB11_69 Depth=5
	s_and_not1_saveexec_b32 s4, s34
	s_cbranch_execz .LBB11_68
; %bb.80:                               ;   in Loop: Header=BB11_69 Depth=5
	v_rcp_iflag_f32_e32 v3, v38
	s_sub_i32 s26, 0, s42
	s_waitcnt_depctr 0xfff
	v_mul_f32_e32 v3, 0x4f7ffffe, v3
	s_delay_alu instid0(VALU_DEP_1) | instskip(NEXT) | instid1(VALU_DEP_1)
	v_cvt_u32_f32_e32 v3, v3
	v_mul_lo_u32 v26, s26, v3
	s_delay_alu instid0(VALU_DEP_1) | instskip(NEXT) | instid1(VALU_DEP_1)
	v_mul_hi_u32 v26, v3, v26
	v_add_nc_u32_e32 v3, v3, v26
	s_delay_alu instid0(VALU_DEP_1) | instskip(NEXT) | instid1(VALU_DEP_1)
	v_mul_hi_u32 v3, v25, v3
	v_mul_lo_u32 v26, v3, s42
	s_delay_alu instid0(VALU_DEP_1) | instskip(SKIP_1) | instid1(VALU_DEP_2)
	v_sub_nc_u32_e32 v25, v25, v26
	v_add_nc_u32_e32 v26, 1, v3
	v_subrev_nc_u32_e32 v27, s42, v25
	v_cmp_le_u32_e32 vcc_lo, s42, v25
	s_delay_alu instid0(VALU_DEP_2) | instskip(NEXT) | instid1(VALU_DEP_4)
	v_cndmask_b32_e32 v25, v25, v27, vcc_lo
	v_cndmask_b32_e32 v3, v3, v26, vcc_lo
	s_delay_alu instid0(VALU_DEP_2) | instskip(NEXT) | instid1(VALU_DEP_2)
	v_cmp_le_u32_e32 vcc_lo, s42, v25
	v_add_nc_u32_e32 v26, 1, v3
	s_delay_alu instid0(VALU_DEP_1)
	v_cndmask_b32_e32 v27, v3, v26, vcc_lo
	s_branch .LBB11_68
.LBB11_81:                              ;   in Loop: Header=BB11_42 Depth=3
                                        ; implicit-def: $vgpr15_vgpr16
	v_cvt_f32_u32_e32 v0, s12
	s_branch .LBB11_44
.LBB11_82:                              ;   in Loop: Header=BB11_42 Depth=3
                                        ; implicit-def: $sgpr26_sgpr27
	s_branch .LBB11_47
.LBB11_83:                              ;   in Loop: Header=BB11_42 Depth=3
                                        ; implicit-def: $vgpr16_vgpr17
	s_branch .LBB11_50
.LBB11_84:
	s_nop 0
	s_sendmsg sendmsg(MSG_DEALLOC_VGPRS)
	s_endpgm
.LBB11_85:
                                        ; implicit-def: $sgpr20_sgpr21
	v_cvt_f32_u32_e32 v1, s10
	s_branch .LBB11_2
.LBB11_86:
                                        ; implicit-def: $sgpr16_sgpr17
	s_branch .LBB11_5
.LBB11_87:
                                        ; implicit-def: $vgpr3_vgpr4
	s_load_b32 s2, s[0:1], 0x3c
	s_branch .LBB11_8
	.section	.rodata,"a",@progbits
	.p2align	6, 0x0
	.amdhsa_kernel _ZN2at6native12_GLOBAL__N_124adaptiveaveragegradinputIN3c108BFloat16EfEEvPT_PKS5_iiiiiil
		.amdhsa_group_segment_fixed_size 0
		.amdhsa_private_segment_fixed_size 0
		.amdhsa_kernarg_size 304
		.amdhsa_user_sgpr_count 14
		.amdhsa_user_sgpr_dispatch_ptr 0
		.amdhsa_user_sgpr_queue_ptr 0
		.amdhsa_user_sgpr_kernarg_segment_ptr 1
		.amdhsa_user_sgpr_dispatch_id 0
		.amdhsa_user_sgpr_private_segment_size 0
		.amdhsa_wavefront_size32 1
		.amdhsa_uses_dynamic_stack 0
		.amdhsa_enable_private_segment 0
		.amdhsa_system_sgpr_workgroup_id_x 1
		.amdhsa_system_sgpr_workgroup_id_y 1
		.amdhsa_system_sgpr_workgroup_id_z 0
		.amdhsa_system_sgpr_workgroup_info 0
		.amdhsa_system_vgpr_workitem_id 1
		.amdhsa_next_free_vgpr 45
		.amdhsa_next_free_sgpr 56
		.amdhsa_reserve_vcc 1
		.amdhsa_float_round_mode_32 0
		.amdhsa_float_round_mode_16_64 0
		.amdhsa_float_denorm_mode_32 3
		.amdhsa_float_denorm_mode_16_64 3
		.amdhsa_dx10_clamp 1
		.amdhsa_ieee_mode 1
		.amdhsa_fp16_overflow 0
		.amdhsa_workgroup_processor_mode 1
		.amdhsa_memory_ordered 1
		.amdhsa_forward_progress 0
		.amdhsa_shared_vgpr_count 0
		.amdhsa_exception_fp_ieee_invalid_op 0
		.amdhsa_exception_fp_denorm_src 0
		.amdhsa_exception_fp_ieee_div_zero 0
		.amdhsa_exception_fp_ieee_overflow 0
		.amdhsa_exception_fp_ieee_underflow 0
		.amdhsa_exception_fp_ieee_inexact 0
		.amdhsa_exception_int_div_zero 0
	.end_amdhsa_kernel
	.section	.text._ZN2at6native12_GLOBAL__N_124adaptiveaveragegradinputIN3c108BFloat16EfEEvPT_PKS5_iiiiiil,"axG",@progbits,_ZN2at6native12_GLOBAL__N_124adaptiveaveragegradinputIN3c108BFloat16EfEEvPT_PKS5_iiiiiil,comdat
.Lfunc_end11:
	.size	_ZN2at6native12_GLOBAL__N_124adaptiveaveragegradinputIN3c108BFloat16EfEEvPT_PKS5_iiiiiil, .Lfunc_end11-_ZN2at6native12_GLOBAL__N_124adaptiveaveragegradinputIN3c108BFloat16EfEEvPT_PKS5_iiiiiil
                                        ; -- End function
	.section	.AMDGPU.csdata,"",@progbits
; Kernel info:
; codeLenInByte = 17508
; NumSgprs: 58
; NumVgprs: 45
; ScratchSize: 0
; MemoryBound: 0
; FloatMode: 240
; IeeeMode: 1
; LDSByteSize: 0 bytes/workgroup (compile time only)
; SGPRBlocks: 7
; VGPRBlocks: 5
; NumSGPRsForWavesPerEU: 58
; NumVGPRsForWavesPerEU: 45
; Occupancy: 16
; WaveLimiterHint : 0
; COMPUTE_PGM_RSRC2:SCRATCH_EN: 0
; COMPUTE_PGM_RSRC2:USER_SGPR: 14
; COMPUTE_PGM_RSRC2:TRAP_HANDLER: 0
; COMPUTE_PGM_RSRC2:TGID_X_EN: 1
; COMPUTE_PGM_RSRC2:TGID_Y_EN: 1
; COMPUTE_PGM_RSRC2:TGID_Z_EN: 0
; COMPUTE_PGM_RSRC2:TIDIG_COMP_CNT: 1
	.text
	.p2alignl 7, 3214868480
	.fill 96, 4, 3214868480
	.type	__hip_cuid_9e8bc956916247fd,@object ; @__hip_cuid_9e8bc956916247fd
	.section	.bss,"aw",@nobits
	.globl	__hip_cuid_9e8bc956916247fd
__hip_cuid_9e8bc956916247fd:
	.byte	0                               ; 0x0
	.size	__hip_cuid_9e8bc956916247fd, 1

	.ident	"AMD clang version 19.0.0git (https://github.com/RadeonOpenCompute/llvm-project roc-6.4.0 25133 c7fe45cf4b819c5991fe208aaa96edf142730f1d)"
	.section	".note.GNU-stack","",@progbits
	.addrsig
	.addrsig_sym __hip_cuid_9e8bc956916247fd
	.amdgpu_metadata
---
amdhsa.kernels:
  - .args:
      - .address_space:  global
        .offset:         0
        .size:           8
        .value_kind:     global_buffer
      - .address_space:  global
        .offset:         8
        .size:           8
        .value_kind:     global_buffer
      - .offset:         16
        .size:           4
        .value_kind:     by_value
      - .offset:         20
        .size:           4
        .value_kind:     by_value
      - .offset:         24
        .size:           4
        .value_kind:     by_value
      - .offset:         28
        .size:           4
        .value_kind:     by_value
      - .offset:         32
        .size:           4
        .value_kind:     by_value
      - .offset:         36
        .size:           4
        .value_kind:     by_value
      - .offset:         40
        .size:           8
        .value_kind:     by_value
      - .offset:         48
        .size:           8
        .value_kind:     by_value
      - .offset:         56
        .size:           8
        .value_kind:     by_value
      - .offset:         64
        .size:           8
        .value_kind:     by_value
      - .offset:         72
        .size:           8
        .value_kind:     by_value
      - .offset:         80
        .size:           8
        .value_kind:     by_value
      - .offset:         88
        .size:           8
        .value_kind:     by_value
      - .offset:         96
        .size:           4
        .value_kind:     hidden_block_count_x
      - .offset:         100
        .size:           4
        .value_kind:     hidden_block_count_y
      - .offset:         104
        .size:           4
        .value_kind:     hidden_block_count_z
      - .offset:         108
        .size:           2
        .value_kind:     hidden_group_size_x
      - .offset:         110
        .size:           2
        .value_kind:     hidden_group_size_y
      - .offset:         112
        .size:           2
        .value_kind:     hidden_group_size_z
      - .offset:         114
        .size:           2
        .value_kind:     hidden_remainder_x
      - .offset:         116
        .size:           2
        .value_kind:     hidden_remainder_y
      - .offset:         118
        .size:           2
        .value_kind:     hidden_remainder_z
      - .offset:         136
        .size:           8
        .value_kind:     hidden_global_offset_x
      - .offset:         144
        .size:           8
        .value_kind:     hidden_global_offset_y
      - .offset:         152
        .size:           8
        .value_kind:     hidden_global_offset_z
      - .offset:         160
        .size:           2
        .value_kind:     hidden_grid_dims
    .group_segment_fixed_size: 0
    .kernarg_segment_align: 8
    .kernarg_segment_size: 352
    .language:       OpenCL C
    .language_version:
      - 2
      - 0
    .max_flat_workgroup_size: 1024
    .name:           _ZN2at6native12_GLOBAL__N_119adaptiveaveragepoolIddEEvPKT_PS3_iiiiiilllllll
    .private_segment_fixed_size: 0
    .sgpr_count:     45
    .sgpr_spill_count: 0
    .symbol:         _ZN2at6native12_GLOBAL__N_119adaptiveaveragepoolIddEEvPKT_PS3_iiiiiilllllll.kd
    .uniform_work_group_size: 1
    .uses_dynamic_stack: false
    .vgpr_count:     28
    .vgpr_spill_count: 0
    .wavefront_size: 32
    .workgroup_processor_mode: 1
  - .args:
      - .address_space:  global
        .offset:         0
        .size:           8
        .value_kind:     global_buffer
      - .address_space:  global
        .offset:         8
        .size:           8
        .value_kind:     global_buffer
      - .offset:         16
        .size:           4
        .value_kind:     by_value
      - .offset:         20
        .size:           4
        .value_kind:     by_value
      - .offset:         24
        .size:           4
        .value_kind:     by_value
      - .offset:         28
        .size:           4
        .value_kind:     by_value
      - .offset:         32
        .size:           4
        .value_kind:     by_value
      - .offset:         36
        .size:           4
        .value_kind:     by_value
      - .offset:         40
        .size:           8
        .value_kind:     by_value
      - .offset:         48
        .size:           8
        .value_kind:     by_value
      - .offset:         56
        .size:           8
        .value_kind:     by_value
      - .offset:         64
        .size:           8
        .value_kind:     by_value
      - .offset:         72
        .size:           8
        .value_kind:     by_value
      - .offset:         80
        .size:           8
        .value_kind:     by_value
      - .offset:         88
        .size:           8
        .value_kind:     by_value
      - .offset:         96
        .size:           4
        .value_kind:     hidden_block_count_x
      - .offset:         100
        .size:           4
        .value_kind:     hidden_block_count_y
      - .offset:         104
        .size:           4
        .value_kind:     hidden_block_count_z
      - .offset:         108
        .size:           2
        .value_kind:     hidden_group_size_x
      - .offset:         110
        .size:           2
        .value_kind:     hidden_group_size_y
      - .offset:         112
        .size:           2
        .value_kind:     hidden_group_size_z
      - .offset:         114
        .size:           2
        .value_kind:     hidden_remainder_x
      - .offset:         116
        .size:           2
        .value_kind:     hidden_remainder_y
      - .offset:         118
        .size:           2
        .value_kind:     hidden_remainder_z
      - .offset:         136
        .size:           8
        .value_kind:     hidden_global_offset_x
      - .offset:         144
        .size:           8
        .value_kind:     hidden_global_offset_y
      - .offset:         152
        .size:           8
        .value_kind:     hidden_global_offset_z
      - .offset:         160
        .size:           2
        .value_kind:     hidden_grid_dims
    .group_segment_fixed_size: 0
    .kernarg_segment_align: 8
    .kernarg_segment_size: 352
    .language:       OpenCL C
    .language_version:
      - 2
      - 0
    .max_flat_workgroup_size: 1024
    .name:           _ZN2at6native12_GLOBAL__N_119adaptiveaveragepoolIffEEvPKT_PS3_iiiiiilllllll
    .private_segment_fixed_size: 0
    .sgpr_count:     45
    .sgpr_spill_count: 0
    .symbol:         _ZN2at6native12_GLOBAL__N_119adaptiveaveragepoolIffEEvPKT_PS3_iiiiiilllllll.kd
    .uniform_work_group_size: 1
    .uses_dynamic_stack: false
    .vgpr_count:     28
    .vgpr_spill_count: 0
    .wavefront_size: 32
    .workgroup_processor_mode: 1
  - .args:
      - .address_space:  global
        .offset:         0
        .size:           8
        .value_kind:     global_buffer
      - .address_space:  global
        .offset:         8
        .size:           8
        .value_kind:     global_buffer
      - .offset:         16
        .size:           4
        .value_kind:     by_value
      - .offset:         20
        .size:           4
        .value_kind:     by_value
      - .offset:         24
        .size:           4
        .value_kind:     by_value
      - .offset:         28
        .size:           4
        .value_kind:     by_value
      - .offset:         32
        .size:           4
        .value_kind:     by_value
      - .offset:         36
        .size:           4
        .value_kind:     by_value
      - .offset:         40
        .size:           8
        .value_kind:     by_value
      - .offset:         48
        .size:           8
        .value_kind:     by_value
      - .offset:         56
        .size:           8
        .value_kind:     by_value
      - .offset:         64
        .size:           8
        .value_kind:     by_value
      - .offset:         72
        .size:           8
        .value_kind:     by_value
      - .offset:         80
        .size:           8
        .value_kind:     by_value
      - .offset:         88
        .size:           8
        .value_kind:     by_value
      - .offset:         96
        .size:           4
        .value_kind:     hidden_block_count_x
      - .offset:         100
        .size:           4
        .value_kind:     hidden_block_count_y
      - .offset:         104
        .size:           4
        .value_kind:     hidden_block_count_z
      - .offset:         108
        .size:           2
        .value_kind:     hidden_group_size_x
      - .offset:         110
        .size:           2
        .value_kind:     hidden_group_size_y
      - .offset:         112
        .size:           2
        .value_kind:     hidden_group_size_z
      - .offset:         114
        .size:           2
        .value_kind:     hidden_remainder_x
      - .offset:         116
        .size:           2
        .value_kind:     hidden_remainder_y
      - .offset:         118
        .size:           2
        .value_kind:     hidden_remainder_z
      - .offset:         136
        .size:           8
        .value_kind:     hidden_global_offset_x
      - .offset:         144
        .size:           8
        .value_kind:     hidden_global_offset_y
      - .offset:         152
        .size:           8
        .value_kind:     hidden_global_offset_z
      - .offset:         160
        .size:           2
        .value_kind:     hidden_grid_dims
    .group_segment_fixed_size: 0
    .kernarg_segment_align: 8
    .kernarg_segment_size: 352
    .language:       OpenCL C
    .language_version:
      - 2
      - 0
    .max_flat_workgroup_size: 1024
    .name:           _ZN2at6native12_GLOBAL__N_119adaptiveaveragepoolIN3c104HalfEfEEvPKT_PS5_iiiiiilllllll
    .private_segment_fixed_size: 0
    .sgpr_count:     45
    .sgpr_spill_count: 0
    .symbol:         _ZN2at6native12_GLOBAL__N_119adaptiveaveragepoolIN3c104HalfEfEEvPKT_PS5_iiiiiilllllll.kd
    .uniform_work_group_size: 1
    .uses_dynamic_stack: false
    .vgpr_count:     28
    .vgpr_spill_count: 0
    .wavefront_size: 32
    .workgroup_processor_mode: 1
  - .args:
      - .address_space:  global
        .offset:         0
        .size:           8
        .value_kind:     global_buffer
      - .address_space:  global
        .offset:         8
        .size:           8
        .value_kind:     global_buffer
      - .offset:         16
        .size:           4
        .value_kind:     by_value
      - .offset:         20
        .size:           4
        .value_kind:     by_value
      - .offset:         24
        .size:           4
        .value_kind:     by_value
      - .offset:         28
        .size:           4
        .value_kind:     by_value
      - .offset:         32
        .size:           4
        .value_kind:     by_value
      - .offset:         36
        .size:           4
        .value_kind:     by_value
      - .offset:         40
        .size:           8
        .value_kind:     by_value
      - .offset:         48
        .size:           8
        .value_kind:     by_value
      - .offset:         56
        .size:           8
        .value_kind:     by_value
      - .offset:         64
        .size:           8
        .value_kind:     by_value
      - .offset:         72
        .size:           8
        .value_kind:     by_value
      - .offset:         80
        .size:           8
        .value_kind:     by_value
      - .offset:         88
        .size:           8
        .value_kind:     by_value
      - .offset:         96
        .size:           4
        .value_kind:     hidden_block_count_x
      - .offset:         100
        .size:           4
        .value_kind:     hidden_block_count_y
      - .offset:         104
        .size:           4
        .value_kind:     hidden_block_count_z
      - .offset:         108
        .size:           2
        .value_kind:     hidden_group_size_x
      - .offset:         110
        .size:           2
        .value_kind:     hidden_group_size_y
      - .offset:         112
        .size:           2
        .value_kind:     hidden_group_size_z
      - .offset:         114
        .size:           2
        .value_kind:     hidden_remainder_x
      - .offset:         116
        .size:           2
        .value_kind:     hidden_remainder_y
      - .offset:         118
        .size:           2
        .value_kind:     hidden_remainder_z
      - .offset:         136
        .size:           8
        .value_kind:     hidden_global_offset_x
      - .offset:         144
        .size:           8
        .value_kind:     hidden_global_offset_y
      - .offset:         152
        .size:           8
        .value_kind:     hidden_global_offset_z
      - .offset:         160
        .size:           2
        .value_kind:     hidden_grid_dims
    .group_segment_fixed_size: 0
    .kernarg_segment_align: 8
    .kernarg_segment_size: 352
    .language:       OpenCL C
    .language_version:
      - 2
      - 0
    .max_flat_workgroup_size: 1024
    .name:           _ZN2at6native12_GLOBAL__N_119adaptiveaveragepoolIN3c108BFloat16EfEEvPKT_PS5_iiiiiilllllll
    .private_segment_fixed_size: 0
    .sgpr_count:     45
    .sgpr_spill_count: 0
    .symbol:         _ZN2at6native12_GLOBAL__N_119adaptiveaveragepoolIN3c108BFloat16EfEEvPKT_PS5_iiiiiilllllll.kd
    .uniform_work_group_size: 1
    .uses_dynamic_stack: false
    .vgpr_count:     28
    .vgpr_spill_count: 0
    .wavefront_size: 32
    .workgroup_processor_mode: 1
  - .args:
      - .address_space:  global
        .offset:         0
        .size:           8
        .value_kind:     global_buffer
      - .address_space:  global
        .offset:         8
        .size:           8
        .value_kind:     global_buffer
      - .offset:         16
        .size:           4
        .value_kind:     by_value
      - .offset:         20
        .size:           4
        .value_kind:     by_value
      - .offset:         24
        .size:           4
        .value_kind:     by_value
      - .offset:         28
        .size:           4
        .value_kind:     by_value
      - .offset:         32
        .size:           4
        .value_kind:     by_value
      - .offset:         36
        .size:           4
        .value_kind:     by_value
      - .offset:         40
        .size:           8
        .value_kind:     by_value
      - .offset:         48
        .size:           4
        .value_kind:     hidden_block_count_x
      - .offset:         52
        .size:           4
        .value_kind:     hidden_block_count_y
      - .offset:         56
        .size:           4
        .value_kind:     hidden_block_count_z
      - .offset:         60
        .size:           2
        .value_kind:     hidden_group_size_x
      - .offset:         62
        .size:           2
        .value_kind:     hidden_group_size_y
      - .offset:         64
        .size:           2
        .value_kind:     hidden_group_size_z
      - .offset:         66
        .size:           2
        .value_kind:     hidden_remainder_x
      - .offset:         68
        .size:           2
        .value_kind:     hidden_remainder_y
      - .offset:         70
        .size:           2
        .value_kind:     hidden_remainder_z
      - .offset:         88
        .size:           8
        .value_kind:     hidden_global_offset_x
      - .offset:         96
        .size:           8
        .value_kind:     hidden_global_offset_y
      - .offset:         104
        .size:           8
        .value_kind:     hidden_global_offset_z
      - .offset:         112
        .size:           2
        .value_kind:     hidden_grid_dims
    .group_segment_fixed_size: 0
    .kernarg_segment_align: 8
    .kernarg_segment_size: 304
    .language:       OpenCL C
    .language_version:
      - 2
      - 0
    .max_flat_workgroup_size: 1024
    .name:           _ZN2at6native12_GLOBAL__N_130atomicadaptiveaveragegradinputIdEEvPT_PKS3_iiiiiil
    .private_segment_fixed_size: 0
    .sgpr_count:     40
    .sgpr_spill_count: 0
    .symbol:         _ZN2at6native12_GLOBAL__N_130atomicadaptiveaveragegradinputIdEEvPT_PKS3_iiiiiil.kd
    .uniform_work_group_size: 1
    .uses_dynamic_stack: false
    .vgpr_count:     35
    .vgpr_spill_count: 0
    .wavefront_size: 32
    .workgroup_processor_mode: 1
  - .args:
      - .address_space:  global
        .offset:         0
        .size:           8
        .value_kind:     global_buffer
      - .address_space:  global
        .offset:         8
        .size:           8
        .value_kind:     global_buffer
      - .offset:         16
        .size:           4
        .value_kind:     by_value
      - .offset:         20
        .size:           4
        .value_kind:     by_value
      - .offset:         24
        .size:           4
        .value_kind:     by_value
      - .offset:         28
        .size:           4
        .value_kind:     by_value
      - .offset:         32
        .size:           4
        .value_kind:     by_value
      - .offset:         36
        .size:           4
        .value_kind:     by_value
      - .offset:         40
        .size:           8
        .value_kind:     by_value
      - .offset:         48
        .size:           4
        .value_kind:     hidden_block_count_x
      - .offset:         52
        .size:           4
        .value_kind:     hidden_block_count_y
      - .offset:         56
        .size:           4
        .value_kind:     hidden_block_count_z
      - .offset:         60
        .size:           2
        .value_kind:     hidden_group_size_x
      - .offset:         62
        .size:           2
        .value_kind:     hidden_group_size_y
      - .offset:         64
        .size:           2
        .value_kind:     hidden_group_size_z
      - .offset:         66
        .size:           2
        .value_kind:     hidden_remainder_x
      - .offset:         68
        .size:           2
        .value_kind:     hidden_remainder_y
      - .offset:         70
        .size:           2
        .value_kind:     hidden_remainder_z
      - .offset:         88
        .size:           8
        .value_kind:     hidden_global_offset_x
      - .offset:         96
        .size:           8
        .value_kind:     hidden_global_offset_y
      - .offset:         104
        .size:           8
        .value_kind:     hidden_global_offset_z
      - .offset:         112
        .size:           2
        .value_kind:     hidden_grid_dims
    .group_segment_fixed_size: 0
    .kernarg_segment_align: 8
    .kernarg_segment_size: 304
    .language:       OpenCL C
    .language_version:
      - 2
      - 0
    .max_flat_workgroup_size: 1024
    .name:           _ZN2at6native12_GLOBAL__N_130atomicadaptiveaveragegradinputIfEEvPT_PKS3_iiiiiil
    .private_segment_fixed_size: 0
    .sgpr_count:     40
    .sgpr_spill_count: 0
    .symbol:         _ZN2at6native12_GLOBAL__N_130atomicadaptiveaveragegradinputIfEEvPT_PKS3_iiiiiil.kd
    .uniform_work_group_size: 1
    .uses_dynamic_stack: false
    .vgpr_count:     32
    .vgpr_spill_count: 0
    .wavefront_size: 32
    .workgroup_processor_mode: 1
  - .args:
      - .address_space:  global
        .offset:         0
        .size:           8
        .value_kind:     global_buffer
      - .address_space:  global
        .offset:         8
        .size:           8
        .value_kind:     global_buffer
      - .offset:         16
        .size:           4
        .value_kind:     by_value
      - .offset:         20
        .size:           4
        .value_kind:     by_value
      - .offset:         24
        .size:           4
        .value_kind:     by_value
      - .offset:         28
        .size:           4
        .value_kind:     by_value
      - .offset:         32
        .size:           4
        .value_kind:     by_value
      - .offset:         36
        .size:           4
        .value_kind:     by_value
      - .offset:         40
        .size:           8
        .value_kind:     by_value
      - .offset:         48
        .size:           4
        .value_kind:     hidden_block_count_x
      - .offset:         52
        .size:           4
        .value_kind:     hidden_block_count_y
      - .offset:         56
        .size:           4
        .value_kind:     hidden_block_count_z
      - .offset:         60
        .size:           2
        .value_kind:     hidden_group_size_x
      - .offset:         62
        .size:           2
        .value_kind:     hidden_group_size_y
      - .offset:         64
        .size:           2
        .value_kind:     hidden_group_size_z
      - .offset:         66
        .size:           2
        .value_kind:     hidden_remainder_x
      - .offset:         68
        .size:           2
        .value_kind:     hidden_remainder_y
      - .offset:         70
        .size:           2
        .value_kind:     hidden_remainder_z
      - .offset:         88
        .size:           8
        .value_kind:     hidden_global_offset_x
      - .offset:         96
        .size:           8
        .value_kind:     hidden_global_offset_y
      - .offset:         104
        .size:           8
        .value_kind:     hidden_global_offset_z
      - .offset:         112
        .size:           2
        .value_kind:     hidden_grid_dims
    .group_segment_fixed_size: 0
    .kernarg_segment_align: 8
    .kernarg_segment_size: 304
    .language:       OpenCL C
    .language_version:
      - 2
      - 0
    .max_flat_workgroup_size: 1024
    .name:           _ZN2at6native12_GLOBAL__N_130atomicadaptiveaveragegradinputIN3c104HalfEEEvPT_PKS5_iiiiiil
    .private_segment_fixed_size: 0
    .sgpr_count:     40
    .sgpr_spill_count: 0
    .symbol:         _ZN2at6native12_GLOBAL__N_130atomicadaptiveaveragegradinputIN3c104HalfEEEvPT_PKS5_iiiiiil.kd
    .uniform_work_group_size: 1
    .uses_dynamic_stack: false
    .vgpr_count:     33
    .vgpr_spill_count: 0
    .wavefront_size: 32
    .workgroup_processor_mode: 1
  - .args:
      - .address_space:  global
        .offset:         0
        .size:           8
        .value_kind:     global_buffer
      - .address_space:  global
        .offset:         8
        .size:           8
        .value_kind:     global_buffer
      - .offset:         16
        .size:           4
        .value_kind:     by_value
      - .offset:         20
        .size:           4
        .value_kind:     by_value
      - .offset:         24
        .size:           4
        .value_kind:     by_value
      - .offset:         28
        .size:           4
        .value_kind:     by_value
      - .offset:         32
        .size:           4
        .value_kind:     by_value
      - .offset:         36
        .size:           4
        .value_kind:     by_value
      - .offset:         40
        .size:           8
        .value_kind:     by_value
      - .offset:         48
        .size:           4
        .value_kind:     hidden_block_count_x
      - .offset:         52
        .size:           4
        .value_kind:     hidden_block_count_y
      - .offset:         56
        .size:           4
        .value_kind:     hidden_block_count_z
      - .offset:         60
        .size:           2
        .value_kind:     hidden_group_size_x
      - .offset:         62
        .size:           2
        .value_kind:     hidden_group_size_y
      - .offset:         64
        .size:           2
        .value_kind:     hidden_group_size_z
      - .offset:         66
        .size:           2
        .value_kind:     hidden_remainder_x
      - .offset:         68
        .size:           2
        .value_kind:     hidden_remainder_y
      - .offset:         70
        .size:           2
        .value_kind:     hidden_remainder_z
      - .offset:         88
        .size:           8
        .value_kind:     hidden_global_offset_x
      - .offset:         96
        .size:           8
        .value_kind:     hidden_global_offset_y
      - .offset:         104
        .size:           8
        .value_kind:     hidden_global_offset_z
      - .offset:         112
        .size:           2
        .value_kind:     hidden_grid_dims
    .group_segment_fixed_size: 0
    .kernarg_segment_align: 8
    .kernarg_segment_size: 304
    .language:       OpenCL C
    .language_version:
      - 2
      - 0
    .max_flat_workgroup_size: 1024
    .name:           _ZN2at6native12_GLOBAL__N_130atomicadaptiveaveragegradinputIN3c108BFloat16EEEvPT_PKS5_iiiiiil
    .private_segment_fixed_size: 0
    .sgpr_count:     39
    .sgpr_spill_count: 0
    .symbol:         _ZN2at6native12_GLOBAL__N_130atomicadaptiveaveragegradinputIN3c108BFloat16EEEvPT_PKS5_iiiiiil.kd
    .uniform_work_group_size: 1
    .uses_dynamic_stack: false
    .vgpr_count:     32
    .vgpr_spill_count: 0
    .wavefront_size: 32
    .workgroup_processor_mode: 1
  - .args:
      - .address_space:  global
        .offset:         0
        .size:           8
        .value_kind:     global_buffer
      - .address_space:  global
        .offset:         8
        .size:           8
        .value_kind:     global_buffer
      - .offset:         16
        .size:           4
        .value_kind:     by_value
      - .offset:         20
        .size:           4
        .value_kind:     by_value
      - .offset:         24
        .size:           4
        .value_kind:     by_value
      - .offset:         28
        .size:           4
        .value_kind:     by_value
      - .offset:         32
        .size:           4
        .value_kind:     by_value
      - .offset:         36
        .size:           4
        .value_kind:     by_value
      - .offset:         40
        .size:           8
        .value_kind:     by_value
      - .offset:         48
        .size:           4
        .value_kind:     hidden_block_count_x
      - .offset:         52
        .size:           4
        .value_kind:     hidden_block_count_y
      - .offset:         56
        .size:           4
        .value_kind:     hidden_block_count_z
      - .offset:         60
        .size:           2
        .value_kind:     hidden_group_size_x
      - .offset:         62
        .size:           2
        .value_kind:     hidden_group_size_y
      - .offset:         64
        .size:           2
        .value_kind:     hidden_group_size_z
      - .offset:         66
        .size:           2
        .value_kind:     hidden_remainder_x
      - .offset:         68
        .size:           2
        .value_kind:     hidden_remainder_y
      - .offset:         70
        .size:           2
        .value_kind:     hidden_remainder_z
      - .offset:         88
        .size:           8
        .value_kind:     hidden_global_offset_x
      - .offset:         96
        .size:           8
        .value_kind:     hidden_global_offset_y
      - .offset:         104
        .size:           8
        .value_kind:     hidden_global_offset_z
      - .offset:         112
        .size:           2
        .value_kind:     hidden_grid_dims
    .group_segment_fixed_size: 0
    .kernarg_segment_align: 8
    .kernarg_segment_size: 304
    .language:       OpenCL C
    .language_version:
      - 2
      - 0
    .max_flat_workgroup_size: 1024
    .name:           _ZN2at6native12_GLOBAL__N_124adaptiveaveragegradinputIddEEvPT_PKS3_iiiiiil
    .private_segment_fixed_size: 0
    .sgpr_count:     58
    .sgpr_spill_count: 0
    .symbol:         _ZN2at6native12_GLOBAL__N_124adaptiveaveragegradinputIddEEvPT_PKS3_iiiiiil.kd
    .uniform_work_group_size: 1
    .uses_dynamic_stack: false
    .vgpr_count:     46
    .vgpr_spill_count: 0
    .wavefront_size: 32
    .workgroup_processor_mode: 1
  - .args:
      - .address_space:  global
        .offset:         0
        .size:           8
        .value_kind:     global_buffer
      - .address_space:  global
        .offset:         8
        .size:           8
        .value_kind:     global_buffer
      - .offset:         16
        .size:           4
        .value_kind:     by_value
      - .offset:         20
        .size:           4
        .value_kind:     by_value
      - .offset:         24
        .size:           4
        .value_kind:     by_value
      - .offset:         28
        .size:           4
        .value_kind:     by_value
      - .offset:         32
        .size:           4
        .value_kind:     by_value
      - .offset:         36
        .size:           4
        .value_kind:     by_value
      - .offset:         40
        .size:           8
        .value_kind:     by_value
      - .offset:         48
        .size:           4
        .value_kind:     hidden_block_count_x
      - .offset:         52
        .size:           4
        .value_kind:     hidden_block_count_y
      - .offset:         56
        .size:           4
        .value_kind:     hidden_block_count_z
      - .offset:         60
        .size:           2
        .value_kind:     hidden_group_size_x
      - .offset:         62
        .size:           2
        .value_kind:     hidden_group_size_y
      - .offset:         64
        .size:           2
        .value_kind:     hidden_group_size_z
      - .offset:         66
        .size:           2
        .value_kind:     hidden_remainder_x
      - .offset:         68
        .size:           2
        .value_kind:     hidden_remainder_y
      - .offset:         70
        .size:           2
        .value_kind:     hidden_remainder_z
      - .offset:         88
        .size:           8
        .value_kind:     hidden_global_offset_x
      - .offset:         96
        .size:           8
        .value_kind:     hidden_global_offset_y
      - .offset:         104
        .size:           8
        .value_kind:     hidden_global_offset_z
      - .offset:         112
        .size:           2
        .value_kind:     hidden_grid_dims
    .group_segment_fixed_size: 0
    .kernarg_segment_align: 8
    .kernarg_segment_size: 304
    .language:       OpenCL C
    .language_version:
      - 2
      - 0
    .max_flat_workgroup_size: 1024
    .name:           _ZN2at6native12_GLOBAL__N_124adaptiveaveragegradinputIffEEvPT_PKS3_iiiiiil
    .private_segment_fixed_size: 0
    .sgpr_count:     58
    .sgpr_spill_count: 0
    .symbol:         _ZN2at6native12_GLOBAL__N_124adaptiveaveragegradinputIffEEvPT_PKS3_iiiiiil.kd
    .uniform_work_group_size: 1
    .uses_dynamic_stack: false
    .vgpr_count:     45
    .vgpr_spill_count: 0
    .wavefront_size: 32
    .workgroup_processor_mode: 1
  - .args:
      - .address_space:  global
        .offset:         0
        .size:           8
        .value_kind:     global_buffer
      - .address_space:  global
        .offset:         8
        .size:           8
        .value_kind:     global_buffer
      - .offset:         16
        .size:           4
        .value_kind:     by_value
      - .offset:         20
        .size:           4
        .value_kind:     by_value
      - .offset:         24
        .size:           4
        .value_kind:     by_value
      - .offset:         28
        .size:           4
        .value_kind:     by_value
      - .offset:         32
        .size:           4
        .value_kind:     by_value
      - .offset:         36
        .size:           4
        .value_kind:     by_value
      - .offset:         40
        .size:           8
        .value_kind:     by_value
      - .offset:         48
        .size:           4
        .value_kind:     hidden_block_count_x
      - .offset:         52
        .size:           4
        .value_kind:     hidden_block_count_y
      - .offset:         56
        .size:           4
        .value_kind:     hidden_block_count_z
      - .offset:         60
        .size:           2
        .value_kind:     hidden_group_size_x
      - .offset:         62
        .size:           2
        .value_kind:     hidden_group_size_y
      - .offset:         64
        .size:           2
        .value_kind:     hidden_group_size_z
      - .offset:         66
        .size:           2
        .value_kind:     hidden_remainder_x
      - .offset:         68
        .size:           2
        .value_kind:     hidden_remainder_y
      - .offset:         70
        .size:           2
        .value_kind:     hidden_remainder_z
      - .offset:         88
        .size:           8
        .value_kind:     hidden_global_offset_x
      - .offset:         96
        .size:           8
        .value_kind:     hidden_global_offset_y
      - .offset:         104
        .size:           8
        .value_kind:     hidden_global_offset_z
      - .offset:         112
        .size:           2
        .value_kind:     hidden_grid_dims
    .group_segment_fixed_size: 0
    .kernarg_segment_align: 8
    .kernarg_segment_size: 304
    .language:       OpenCL C
    .language_version:
      - 2
      - 0
    .max_flat_workgroup_size: 1024
    .name:           _ZN2at6native12_GLOBAL__N_124adaptiveaveragegradinputIN3c104HalfEfEEvPT_PKS5_iiiiiil
    .private_segment_fixed_size: 0
    .sgpr_count:     58
    .sgpr_spill_count: 0
    .symbol:         _ZN2at6native12_GLOBAL__N_124adaptiveaveragegradinputIN3c104HalfEfEEvPT_PKS5_iiiiiil.kd
    .uniform_work_group_size: 1
    .uses_dynamic_stack: false
    .vgpr_count:     45
    .vgpr_spill_count: 0
    .wavefront_size: 32
    .workgroup_processor_mode: 1
  - .args:
      - .address_space:  global
        .offset:         0
        .size:           8
        .value_kind:     global_buffer
      - .address_space:  global
        .offset:         8
        .size:           8
        .value_kind:     global_buffer
      - .offset:         16
        .size:           4
        .value_kind:     by_value
      - .offset:         20
        .size:           4
        .value_kind:     by_value
      - .offset:         24
        .size:           4
        .value_kind:     by_value
      - .offset:         28
        .size:           4
        .value_kind:     by_value
      - .offset:         32
        .size:           4
        .value_kind:     by_value
      - .offset:         36
        .size:           4
        .value_kind:     by_value
      - .offset:         40
        .size:           8
        .value_kind:     by_value
      - .offset:         48
        .size:           4
        .value_kind:     hidden_block_count_x
      - .offset:         52
        .size:           4
        .value_kind:     hidden_block_count_y
      - .offset:         56
        .size:           4
        .value_kind:     hidden_block_count_z
      - .offset:         60
        .size:           2
        .value_kind:     hidden_group_size_x
      - .offset:         62
        .size:           2
        .value_kind:     hidden_group_size_y
      - .offset:         64
        .size:           2
        .value_kind:     hidden_group_size_z
      - .offset:         66
        .size:           2
        .value_kind:     hidden_remainder_x
      - .offset:         68
        .size:           2
        .value_kind:     hidden_remainder_y
      - .offset:         70
        .size:           2
        .value_kind:     hidden_remainder_z
      - .offset:         88
        .size:           8
        .value_kind:     hidden_global_offset_x
      - .offset:         96
        .size:           8
        .value_kind:     hidden_global_offset_y
      - .offset:         104
        .size:           8
        .value_kind:     hidden_global_offset_z
      - .offset:         112
        .size:           2
        .value_kind:     hidden_grid_dims
    .group_segment_fixed_size: 0
    .kernarg_segment_align: 8
    .kernarg_segment_size: 304
    .language:       OpenCL C
    .language_version:
      - 2
      - 0
    .max_flat_workgroup_size: 1024
    .name:           _ZN2at6native12_GLOBAL__N_124adaptiveaveragegradinputIN3c108BFloat16EfEEvPT_PKS5_iiiiiil
    .private_segment_fixed_size: 0
    .sgpr_count:     58
    .sgpr_spill_count: 0
    .symbol:         _ZN2at6native12_GLOBAL__N_124adaptiveaveragegradinputIN3c108BFloat16EfEEvPT_PKS5_iiiiiil.kd
    .uniform_work_group_size: 1
    .uses_dynamic_stack: false
    .vgpr_count:     45
    .vgpr_spill_count: 0
    .wavefront_size: 32
    .workgroup_processor_mode: 1
amdhsa.target:   amdgcn-amd-amdhsa--gfx1100
amdhsa.version:
  - 1
  - 2
...

	.end_amdgpu_metadata
